;; amdgpu-corpus repo=ROCm/aiter kind=harvested arch=n/a opt=n/a

/root/src/amdgpu-assembly/repos/ROCm__aiter/hsa/gfx950/i8gemm/I8gemm_bf16_perTokenI8_BpreShuffle_48x128.co:	file format elf64-amdgpu

Disassembly of section .text:

0000000000002000 <_ZN5aiter41I8gemm_bf16_perTokenI8_BpreShuffle_48x128E>:
	s_and_b32 s1, s1, 0xffff                                   // 000000002000: 8601FF01 0000FFFF
	s_load_dwordx2 s[16:17], s[0:1], 0x0                       // 000000002008: C0060400 00000000
	s_load_dwordx2 s[4:5], s[0:1], 0x10                        // 000000002010: C0060100 00000010
	s_load_dwordx2 s[8:9], s[0:1], 0x20                        // 000000002018: C0060200 00000020
	s_load_dwordx2 s[20:21], s[0:1], 0x30                      // 000000002020: C0060500 00000030
	s_load_dwordx2 s[24:25], s[0:1], 0x40                      // 000000002028: C0060600 00000040
	s_load_dwordx2 s[28:29], s[0:1], 0x50                      // 000000002030: C0060700 00000050
	s_load_dword s32, s[0:1], 0x60                             // 000000002038: C0020800 00000060
	s_load_dword s33, s[0:1], 0x70                             // 000000002040: C0020840 00000070
	s_load_dword s34, s[0:1], 0x80                             // 000000002048: C0020880 00000080
	s_load_dword s35, s[0:1], 0x90                             // 000000002050: C00208C0 00000090
	s_load_dword s36, s[0:1], 0xa0                             // 000000002058: C0020900 000000A0
	s_load_dword s37, s[0:1], 0xb0                             // 000000002060: C0020940 000000B0
	s_load_dword s38, s[0:1], 0xc0                             // 000000002068: C0020980 000000C0
	v_lshrrev_b32_e32 v1, 10, v0                               // 000000002070: 2002008A
	v_lshrrev_b32_e32 v2, 10, v1                               // 000000002074: 2004028A
	v_and_b32_e32 v2, 0x3ff, v2                                // 000000002078: 260404FF 000003FF
	v_and_b32_e32 v1, 0x3ff, v1                                // 000000002080: 260202FF 000003FF
	v_and_b32_e32 v0, 0x3ff, v0                                // 000000002088: 260000FF 000003FF
	v_lshrrev_b32_e32 v3, 6, v0                                // 000000002090: 20060086
	v_and_b32_e32 v0, 63, v0                                   // 000000002094: 260000BF
	s_mov_b32 s41, s2                                          // 000000002098: BEA90002
	s_mov_b32 s42, s3                                          // 00000000209C: BEAA0003
	s_waitcnt lgkmcnt(0)                                       // 0000000020A0: BF8CC07F
	v_readfirstlane_b32 s44, v3                                // 0000000020A4: 7E580503
	s_mov_b32 s6, 0x80000000                                   // 0000000020A8: BE8600FF 80000000
	s_mov_b32 s10, 0x80000000                                  // 0000000020B0: BE8A00FF 80000000
	s_mov_b32 s22, 0x80000000                                  // 0000000020B8: BE9600FF 80000000
	s_mov_b32 s26, 0x80000000                                  // 0000000020C0: BE9A00FF 80000000
	s_mov_b32 s30, 0x80000000                                  // 0000000020C8: BE9E00FF 80000000
	s_mov_b32 s7, 0x20000                                      // 0000000020D0: BE8700FF 00020000
	s_mov_b32 s11, 0x20000                                     // 0000000020D8: BE8B00FF 00020000
	s_mov_b32 s23, 0x20000                                     // 0000000020E0: BE9700FF 00020000
	s_mov_b32 s27, 0x20000                                     // 0000000020E8: BE9B00FF 00020000
	s_mov_b32 s31, 0x20000                                     // 0000000020F0: BE9F00FF 00020000
	s_and_b32 s5, s5, 0xffff                                   // 0000000020F8: 8605FF05 0000FFFF
	s_and_b32 s9, s9, 0xffff                                   // 000000002100: 8609FF09 0000FFFF
	s_and_b32 s21, s21, 0xffff                                 // 000000002108: 8615FF15 0000FFFF
	s_and_b32 s25, s25, 0xffff                                 // 000000002110: 8619FF19 0000FFFF
	s_and_b32 s29, s29, 0xffff                                 // 000000002118: 861DFF1D 0000FFFF
	s_or_b32 s5, s5, 0x40000                                   // 000000002120: 8705FF05 00040000
	s_or_b32 s9, s9, 0x40000                                   // 000000002128: 8709FF09 00040000
	s_or_b32 s21, s21, 0x40000                                 // 000000002130: 8715FF15 00040000
	s_or_b32 s25, s25, 0x40000                                 // 000000002138: 8719FF19 00040000
	s_or_b32 s29, s29, 0x40000                                 // 000000002140: 871DFF1D 00040000
	s_mov_b32 s56, s41                                         // 000000002148: BEB80029
	s_mov_b32 s57, s38                                         // 00000000214C: BEB90026
	v_cvt_f32_u32_e32 v4, s57                                  // 000000002150: 7E080C39
	s_sub_i32 s47, 0, s57                                      // 000000002154: 81AF3980
	v_rcp_iflag_f32_e32 v4, v4                                 // 000000002158: 7E084704
	s_nop 0                                                    // 00000000215C: BF800000
	v_mul_f32_e32 v4, 0x4f7ffffe, v4                           // 000000002160: 0A0808FF 4F7FFFFE
	v_cvt_u32_f32_e32 v4, v4                                   // 000000002168: 7E080F04
	v_mul_lo_u32 v5, s47, v4                                   // 00000000216C: D2850005 0002082F
	v_mul_hi_u32 v5, v4, v5                                    // 000000002174: D2860005 00020B04
	v_add_u32_e32 v4, v4, v5                                   // 00000000217C: 68080B04
	v_mul_hi_u32 v4, s56, v4                                   // 000000002180: D2860004 00020838
	v_mul_lo_u32 v5, v4, s57                                   // 000000002188: D2850005 00007304
	v_sub_u32_e32 v7, s56, v5                                  // 000000002190: 6A0E0A38
	v_add_u32_e32 v6, 1, v4                                    // 000000002194: 680C0881
	v_cmp_le_u32_e32 vcc, s57, v7                              // 000000002198: 7D960E39
	v_subrev_u32_e32 v5, s57, v7                               // 00000000219C: 6C0A0E39
	s_nop 0                                                    // 0000000021A0: BF800000
	v_cndmask_b32_e32 v4, v4, v6, vcc                          // 0000000021A4: 00080D04
	v_cndmask_b32_e32 v7, v7, v5, vcc                          // 0000000021A8: 000E0B07
	v_add_u32_e32 v5, 1, v4                                    // 0000000021AC: 680A0881
	v_cmp_le_u32_e32 vcc, s57, v7                              // 0000000021B0: 7D960E39
	s_nop 1                                                    // 0000000021B4: BF800001
	v_cndmask_b32_e32 v7, v4, v5, vcc                          // 0000000021B8: 000E0B04
	s_nop 3                                                    // 0000000021BC: BF800003
	v_readfirstlane_b32 s58, v7                                // 0000000021C0: 7E740507
	s_nop 3                                                    // 0000000021C4: BF800003
	s_mov_b32 s41, s58                                         // 0000000021C8: BEA9003A
	s_mul_i32 s47, s41, s38                                    // 0000000021CC: 922F2629
	s_sub_u32 s75, s56, s47                                    // 0000000021D0: 80CB2F38
	s_mov_b32 s56, s34                                         // 0000000021D4: BEB80022
	s_mov_b32 s57, s38                                         // 0000000021D8: BEB90026
	v_cvt_f32_u32_e32 v4, s57                                  // 0000000021DC: 7E080C39
	s_sub_i32 s47, 0, s57                                      // 0000000021E0: 81AF3980
	v_rcp_iflag_f32_e32 v4, v4                                 // 0000000021E4: 7E084704
	s_nop 0                                                    // 0000000021E8: BF800000
	v_mul_f32_e32 v4, 0x4f7ffffe, v4                           // 0000000021EC: 0A0808FF 4F7FFFFE
	v_cvt_u32_f32_e32 v4, v4                                   // 0000000021F4: 7E080F04
	v_mul_lo_u32 v5, s47, v4                                   // 0000000021F8: D2850005 0002082F
	v_mul_hi_u32 v5, v4, v5                                    // 000000002200: D2860005 00020B04
	v_add_u32_e32 v4, v4, v5                                   // 000000002208: 68080B04
	v_mul_hi_u32 v4, s56, v4                                   // 00000000220C: D2860004 00020838
	v_mul_lo_u32 v5, v4, s57                                   // 000000002214: D2850005 00007304
	v_sub_u32_e32 v7, s56, v5                                  // 00000000221C: 6A0E0A38
	v_add_u32_e32 v6, 1, v4                                    // 000000002220: 680C0881
	v_cmp_le_u32_e32 vcc, s57, v7                              // 000000002224: 7D960E39
	v_subrev_u32_e32 v5, s57, v7                               // 000000002228: 6C0A0E39
	s_nop 0                                                    // 00000000222C: BF800000
	v_cndmask_b32_e32 v4, v4, v6, vcc                          // 000000002230: 00080D04
	v_cndmask_b32_e32 v7, v7, v5, vcc                          // 000000002234: 000E0B07
	v_add_u32_e32 v5, 1, v4                                    // 000000002238: 680A0881
	v_cmp_le_u32_e32 vcc, s57, v7                              // 00000000223C: 7D960E39
	s_nop 1                                                    // 000000002240: BF800001
	v_cndmask_b32_e32 v7, v4, v5, vcc                          // 000000002244: 000E0B04
	s_nop 3                                                    // 000000002248: BF800003
	v_readfirstlane_b32 s58, v7                                // 00000000224C: 7E740507
	s_nop 3                                                    // 000000002250: BF800003
	s_add_u32 s58, 0x7f, s58                                   // 000000002254: 803A3AFF 0000007F
	s_lshr_b32 s58, s58, 7                                     // 00000000225C: 8F3A873A
	s_lshl_b32 s76, s58, 7                                     // 000000002260: 8E4C873A
	s_mul_i32 s48, s76, s75                                    // 000000002264: 92304B4C
	s_sub_i32 s47, s34, s48                                    // 000000002268: 81AF3022
	s_cmp_lt_i32 s47, s76                                      // 00000000226C: BF044C2F
	s_cselect_b32 s34, s47, s76                                // 000000002270: 85224C2F
	s_mul_i32 s47, s42, 48                                     // 000000002274: 922FB02A
	s_mul_i32 s48, s47, s37                                    // 000000002278: 9230252F
	s_mul_hi_u32 s49, s47, s37                                 // 00000000227C: 9631252F
	s_add_u32 s16, s16, s48                                    // 000000002280: 80103010
	s_addc_u32 s17, s17, s49                                   // 000000002284: 82113111
	s_mul_i32 s47, s41, 0x80                                   // 000000002288: 922FFF29 00000080
	s_mul_i32 s48, s47, 2                                      // 000000002290: 9230822F
	s_mul_hi_u32 s49, s47, 2                                   // 000000002294: 9631822F
	s_add_u32 s16, s16, s48                                    // 000000002298: 80103010
	s_addc_u32 s17, s17, s49                                   // 00000000229C: 82113111
	s_mov_b32 s80, s16                                         // 0000000022A0: BED00010
	s_mov_b32 s81, s17                                         // 0000000022A4: BED10011
	s_mul_i32 s47, s42, 48                                     // 0000000022A8: 922FB02A
	s_sub_i32 s48, s32, s47                                    // 0000000022AC: 81B02F20
	s_cmp_lt_u32 s48, 48                                       // 0000000022B0: BF0AB030
	s_cselect_b32 s47, s48, 48                                 // 0000000022B4: 852FB030
	s_mul_i32 s48, s47, s37                                    // 0000000022B8: 9230252F
	s_mov_b32 s18, s48                                         // 0000000022BC: BE920030
	s_mov_b32 s82, 0x80000000                                  // 0000000022C0: BED200FF 80000000
	s_mov_b32 s19, 0x20000                                     // 0000000022C8: BE9300FF 00020000
	s_and_b32 s17, s17, 0xffff                                 // 0000000022D0: 8611FF11 0000FFFF
	s_and_b32 s81, s81, 0xffff                                 // 0000000022D8: 8651FF51 0000FFFF
	s_or_b32 s17, s17, 0x40000                                 // 0000000022E0: 8711FF11 00040000
	s_mov_b32 s45, 0x7060302                                   // 0000000022E8: BEAD00FF 07060302
	v_mov_b32_e32 v13, 0xffff0000                              // 0000000022F0: 7E1A02FF FFFF0000
	v_mov_b32_e32 v14, 0x7fff0000                              // 0000000022F8: 7E1C02FF 7FFF0000
	v_mov_b32_e32 v15, 0x7fff                                  // 000000002300: 7E1E02FF 00007FFF
	s_mul_i32 s47, 0x80, s41                                   // 000000002308: 922F29FF 00000080
	s_mul_hi_u32 s48, 4, s47                                   // 000000002310: 96302F84
	s_add_u32 s29, s29, s48                                    // 000000002314: 801D301D
	s_mul_i32 s48, 4, s47                                      // 000000002318: 92302F84
	s_add_u32 s28, s28, s48                                    // 00000000231C: 801C301C
	s_addc_u32 s29, s29, 0                                     // 000000002320: 821D801D
	s_sub_i32 s48, s33, s47                                    // 000000002324: 81B02F21
	s_cmp_lt_u32 s48, 0x80                                     // 000000002328: BF0AFF30 00000080
	s_cselect_b32 s47, s48, 0x80                               // 000000002330: 852FFF30 00000080
	s_mul_i32 s48, 4, s47                                      // 000000002338: 92302F84
	s_mov_b32 s30, s48                                         // 00000000233C: BE9E0030
	s_mov_b32 s31, 0x20000                                     // 000000002340: BE9F00FF 00020000
	v_lshrrev_b32_e32 v4, 4, v0                                // 000000002348: 20080084
	v_lshlrev_b32_e32 v4, 4, v4                                // 00000000234C: 24080884
	s_mul_i32 s49, s44, 0x80                                   // 000000002350: 9231FF2C 00000080
	v_add_u32_e64 v92, v4, s49                                 // 000000002358: D134005C 00006304
	v_add_u32_e64 v93, v92, 64                                 // 000000002360: D134005D 0001815C
	buffer_load_dwordx4 v[94:97], v92, s[28:31], 0 offen       // 000000002368: E05C1000 80075E5C
	buffer_load_dwordx4 v[98:101], v93, s[28:31], 0 offen      // 000000002370: E05C1000 8007625D
	s_mul_i32 s47, 48, s42                                     // 000000002378: 922F2AB0
	s_mul_hi_u32 s48, 4, s47                                   // 00000000237C: 96302F84
	s_add_u32 s21, s21, s48                                    // 000000002380: 80153015
	s_mul_i32 s48, 4, s47                                      // 000000002384: 92302F84
	s_add_u32 s20, s20, s48                                    // 000000002388: 80143014
	s_addc_u32 s21, s21, 0                                     // 00000000238C: 82158015
	s_sub_i32 s48, s32, s47                                    // 000000002390: 81B02F20
	s_cmp_lt_u32 s48, 48                                       // 000000002394: BF0AB030
	s_cselect_b32 s47, s48, 48                                 // 000000002398: 852FB030
	s_mul_i32 s48, 4, s47                                      // 00000000239C: 92302F84
	s_mov_b32 s22, s48                                         // 0000000023A0: BE960030
	s_mov_b32 s23, 0x20000                                     // 0000000023A4: BE9700FF 00020000
	v_and_b32_e64 v88, v0, 15                                  // 0000000023AC: D1130058 00011F00
	v_lshlrev_b32_e32 v88, 2, v88                              // 0000000023B4: 24B0B082
	buffer_load_dword v74, v88, s[20:23], 0 offen              // 0000000023B8: E0501000 80054A58
	buffer_load_dword v75, v88, s[20:23], 0 offen offset:64    // 0000000023C0: E0501040 80054B58
	buffer_load_dword v76, v88, s[20:23], 0 offen offset:128   // 0000000023C8: E0501080 80054C58
	s_mul_i32 s47, 0x80, s41                                   // 0000000023D0: 922F29FF 00000080
	s_mul_hi_u32 s48, 4, s47                                   // 0000000023D8: 96302F84
	s_add_u32 s25, s25, s48                                    // 0000000023DC: 80193019
	s_mul_i32 s48, 4, s47                                      // 0000000023E0: 92302F84
	s_add_u32 s24, s24, s48                                    // 0000000023E4: 80183018
	s_addc_u32 s25, s25, 0                                     // 0000000023E8: 82198019
	s_sub_i32 s48, s33, s47                                    // 0000000023EC: 81B02F21
	s_cmp_lt_u32 s48, 0x80                                     // 0000000023F0: BF0AFF30 00000080
	s_cselect_b32 s47, s48, 0x80                               // 0000000023F8: 852FFF30 00000080
	s_mul_i32 s48, 4, s47                                      // 000000002400: 92302F84
	s_mov_b32 s26, s48                                         // 000000002404: BE9A0030
	s_mov_b32 s27, 0x20000                                     // 000000002408: BE9B00FF 00020000
	v_lshrrev_b32_e32 v4, 4, v0                                // 000000002410: 20080084
	v_lshlrev_b32_e32 v4, 4, v4                                // 000000002414: 24080884
	s_mul_i32 s49, s44, 0x80                                   // 000000002418: 9231FF2C 00000080
	v_add_u32_e64 v90, v4, s49                                 // 000000002420: D134005A 00006304
	v_add_u32_e64 v91, v90, 64                                 // 000000002428: D134005B 0001815A
	buffer_load_dwordx4 v[80:83], v90, s[24:27], 0 offen       // 000000002430: E05C1000 8006505A
	buffer_load_dwordx4 v[84:87], v91, s[24:27], 0 offen       // 000000002438: E05C1000 8006545B
	v_lshrrev_b32_e32 v4, 5, v0                                // 000000002440: 20080085
	v_lshlrev_b32_e32 v4, 2, v4                                // 000000002444: 24080882
	v_mul_i32_i24_e32 v4, s35, v4                              // 000000002448: 0C080823
	v_and_b32_e32 v24, 31, v0                                  // 00000000244C: 2630009F
	v_lshlrev_b32_e32 v24, 2, v24                              // 000000002450: 24303082
	s_mul_i32 s47, 48, s42                                     // 000000002454: 922F2AB0
	s_sub_i32 s48, s32, s47                                    // 000000002458: 81B02F20
	s_cmp_lt_u32 s48, 48                                       // 00000000245C: BF0AB030
	s_cselect_b32 s48, s48, 48                                 // 000000002460: 8530B030
	s_mul_i32 s49, s35, s47                                    // 000000002464: 92312F23
	s_mul_hi_u32 s47, s35, s47                                 // 000000002468: 962F2F23
	s_add_u32 s4, s4, s49                                      // 00000000246C: 80043104
	s_addc_u32 s5, s5, s47                                     // 000000002470: 82052F05
	s_mul_i32 s47, s35, s48                                    // 000000002474: 922F3023
	s_mov_b32 s6, s47                                          // 000000002478: BE86002F
	s_mov_b32 s7, 0x20000                                      // 00000000247C: BE8700FF 00020000
	s_mul_i32 s48, s76, s75                                    // 000000002484: 92304B4C
	s_add_u32 s4, s48, s4                                      // 000000002488: 80040430
	s_addc_u32 s5, 0, s5                                       // 00000000248C: 82050580
	s_sub_u32 s6, s6, s48                                      // 000000002490: 80863006
	s_mul_i32 s47, s35, s44                                    // 000000002494: 922F2C23
	v_add3_u32 v24, v4, v24, s47                               // 000000002498: D1FF0018 00BE3104
	s_lshl_b32 s47, s35, 3                                     // 0000000024A0: 8E2F8323
	v_add_u32_e32 v25, s47, v24                                // 0000000024A4: 6832302F
	v_add_u32_e32 v26, s47, v25                                // 0000000024A8: 6834322F
	v_add_u32_e32 v27, s47, v26                                // 0000000024AC: 6836342F
	v_add_u32_e32 v28, s47, v27                                // 0000000024B0: 6838362F
	v_add_u32_e32 v29, s47, v28                                // 0000000024B4: 683A382F
	s_mov_b32 s51, 0x80                                        // 0000000024B8: BEB300FF 00000080
	s_mov_b32 s47, 48                                          // 0000000024C0: BEAF00B0
	s_lshr_b32 s47, s47, 2                                     // 0000000024C4: 8F2F822F
	s_mul_i32 s47, s47, 32                                     // 0000000024C8: 922FA02F
	s_mov_b32 s48, 8                                           // 0000000024CC: BEB00088
	s_add_u32 s47, s47, s48                                    // 0000000024D0: 802F302F
	v_lshrrev_b32_e32 v4, 4, v0                                // 0000000024D4: 20080084
	v_and_b32_e32 v5, 15, v0                                   // 0000000024D8: 260A008F
	v_and_b32_e32 v6, 3, v5                                    // 0000000024DC: 260C0A83
	v_lshrrev_b32_e32 v7, 2, v5                                // 0000000024E0: 200E0A82
	v_lshlrev_b32_e32 v4, 2, v4                                // 0000000024E4: 24080882
	v_mul_lo_u32 v6, v6, s47                                   // 0000000024E8: D2850006 00005F06
	v_lshlrev_b32_e32 v7, 5, v7                                // 0000000024F0: 240E0E85
	v_add_u32_e32 v4, v4, v6                                   // 0000000024F4: 68080D04
	v_add_u32_e32 v4, v4, v7                                   // 0000000024F8: 68080F04
	v_lshlrev_b32_e32 v30, 2, v4                               // 0000000024FC: 243C0882
	s_mul_i32 s47, 0x620, s44                                  // 000000002500: 922F2CFF 00000620
	s_add_u32 s53, 0, s47                                      // 000000002508: 80352F80
	s_add_u32 s54, 0x1880, s53                                 // 00000000250C: 803635FF 00001880
	s_add_u32 s55, 0x1880, s54                                 // 000000002514: 803736FF 00001880
	s_mov_b32 s52, 0x800                                       // 00000000251C: BEB400FF 00000800
	s_mul_i32 s46, 0x80, s41                                   // 000000002524: 922E29FF 00000080
	s_sub_i32 s48, s33, s46                                    // 00000000252C: 81B02E21
	s_cmp_lt_u32 s48, 0x80                                     // 000000002530: BF0AFF30 00000080
	s_cselect_b32 s47, s48, 0x80                               // 000000002538: 852FFF30 00000080
	s_mul_i32 s48, s36, s46                                    // 000000002540: 92302E24
	s_mul_hi_u32 s49, s36, s46                                 // 000000002544: 96312E24
	s_add_u32 s8, s8, s48                                      // 000000002548: 80083008
	s_addc_u32 s9, s9, s49                                     // 00000000254C: 82093109
	s_mul_i32 s48, s36, s47                                    // 000000002550: 92302F24
	s_mov_b32 s10, s48                                         // 000000002554: BE8A0030
	s_mov_b32 s11, 0x20000                                     // 000000002558: BE8B00FF 00020000
	s_lshr_b32 s48, s76, 7                                     // 000000002560: 8F30874C
	s_mul_i32 s47, s52, s75                                    // 000000002564: 922F4B34
	s_mul_i32 s47, s48, s47                                    // 000000002568: 922F2F30
	s_add_u32 s8, s47, s8                                      // 00000000256C: 8008082F
	s_addc_u32 s9, 0, s9                                       // 000000002570: 82090980
	s_sub_u32 s10, s10, s47                                    // 000000002574: 808A2F0A
	s_lshl_b32 s47, s44, 5                                     // 000000002578: 8E2F852C
	s_mul_i32 s47, s36, s47                                    // 00000000257C: 922F2F24
	v_lshlrev_b32_e32 v32, 4, v0                               // 000000002580: 24400084
	v_add_u32_e32 v32, s47, v32                                // 000000002584: 6840402F
	s_mov_b32 s47, 0x400                                       // 000000002588: BEAF00FF 00000400
	v_add_u32_e64 v33, v32, s47                                // 000000002590: D1340021 00005F20
	s_mul_i32 s47, s36, 16                                     // 000000002598: 922F9024
	v_add_u32_e64 v34, v32, s47                                // 00000000259C: D1340022 00005F20
	v_add_u32_e64 v35, v33, s47                                // 0000000025A4: D1340023 00005F21
	s_add_u32 m0, 0, s53                                       // 0000000025AC: 807C3580
	buffer_load_dword v24, s[4:7], 0 offen lds                 // 0000000025B0: E0511000 80010018
	s_add_u32 m0, 0x100, s53                                   // 0000000025B8: 807C35FF 00000100
	buffer_load_dword v25, s[4:7], 0 offen lds                 // 0000000025C0: E0511000 80010019
	s_add_u32 m0, 0x200, s53                                   // 0000000025C8: 807C35FF 00000200
	buffer_load_dword v26, s[4:7], 0 offen lds                 // 0000000025D0: E0511000 8001001A
	s_add_u32 m0, 0x300, s53                                   // 0000000025D8: 807C35FF 00000300
	buffer_load_dword v27, s[4:7], 0 offen lds                 // 0000000025E0: E0511000 8001001B
	s_add_u32 m0, 0x400, s53                                   // 0000000025E8: 807C35FF 00000400
	buffer_load_dword v28, s[4:7], 0 offen lds                 // 0000000025F0: E0511000 8001001C
	s_add_u32 m0, 0x500, s53                                   // 0000000025F8: 807C35FF 00000500
	buffer_load_dword v29, s[4:7], 0 offen lds                 // 000000002600: E0511000 8001001D
	s_mov_b32 s50, 0                                           // 000000002608: BEB20080
	s_add_u32 s47, 0x80, s50                                   // 00000000260C: 802F32FF 00000080
	s_cmp_lt_u32 s47, s34                                      // 000000002614: BF0A222F
	s_cselect_b32 s51, s51, 0                                  // 000000002618: 85338033
	s_add_u32 s4, s51, s4                                      // 00000000261C: 80040433
	s_addc_u32 s5, 0, s5                                       // 000000002620: 82050580
	s_sub_u32 s6, s6, s51                                      // 000000002624: 80863306
	v_mov_b32_e32 v38, 0                                       // 000000002628: 7E4C0280
	v_mov_b32_e32 v39, 0                                       // 00000000262C: 7E4E0280
	v_mov_b32_e32 v40, 0                                       // 000000002630: 7E500280
	v_mov_b32_e32 v41, 0                                       // 000000002634: 7E520280
	v_mov_b32_e32 v42, 0                                       // 000000002638: 7E540280
	v_mov_b32_e32 v43, 0                                       // 00000000263C: 7E560280
	v_mov_b32_e32 v44, 0                                       // 000000002640: 7E580280
	v_mov_b32_e32 v45, 0                                       // 000000002644: 7E5A0280
	buffer_load_dwordx4 a[0:3], v32, s[8:11], 0 offen          // 000000002648: E05C1000 80820020
	buffer_load_dwordx4 a[4:7], v33, s[8:11], 0 offen          // 000000002650: E05C1000 80820421
	buffer_load_dwordx4 a[8:11], v34, s[8:11], 0 offen         // 000000002658: E05C1000 80820822
	buffer_load_dwordx4 a[12:15], v35, s[8:11], 0 offen        // 000000002660: E05C1000 80820C23
	s_mov_b32 s50, 0                                           // 000000002668: BEB20080
	s_add_u32 s47, 0x80, s50                                   // 00000000266C: 802F32FF 00000080
	s_cmp_lt_u32 s47, s34                                      // 000000002674: BF0A222F
	s_cselect_b32 s52, s52, 0                                  // 000000002678: 85348034
	s_add_u32 s8, s52, s8                                      // 00000000267C: 80080834
	s_addc_u32 s9, 0, s9                                       // 000000002680: 82090980
	s_sub_u32 s10, s10, s52                                    // 000000002684: 808A340A
	s_add_u32 m0, 0, s54                                       // 000000002688: 807C3680
	buffer_load_dword v24, s[4:7], 0 offen lds                 // 00000000268C: E0511000 80010018
	s_add_u32 m0, 0x100, s54                                   // 000000002694: 807C36FF 00000100
	buffer_load_dword v25, s[4:7], 0 offen lds                 // 00000000269C: E0511000 80010019
	s_add_u32 m0, 0x200, s54                                   // 0000000026A4: 807C36FF 00000200
	buffer_load_dword v26, s[4:7], 0 offen lds                 // 0000000026AC: E0511000 8001001A
	s_add_u32 m0, 0x300, s54                                   // 0000000026B4: 807C36FF 00000300
	buffer_load_dword v27, s[4:7], 0 offen lds                 // 0000000026BC: E0511000 8001001B
	s_add_u32 m0, 0x400, s54                                   // 0000000026C4: 807C36FF 00000400
	buffer_load_dword v28, s[4:7], 0 offen lds                 // 0000000026CC: E0511000 8001001C
	s_add_u32 m0, 0x500, s54                                   // 0000000026D4: 807C36FF 00000500
	buffer_load_dword v29, s[4:7], 0 offen lds                 // 0000000026DC: E0511000 8001001D
	s_mov_b32 s50, 0x80                                        // 0000000026E4: BEB200FF 00000080
	s_add_u32 s47, 0x80, s50                                   // 0000000026EC: 802F32FF 00000080
	s_cmp_lt_u32 s47, s34                                      // 0000000026F4: BF0A222F
	s_cselect_b32 s51, s51, 0                                  // 0000000026F8: 85338033
	s_add_u32 s4, s51, s4                                      // 0000000026FC: 80040433
	s_addc_u32 s5, 0, s5                                       // 000000002700: 82050580
	s_sub_u32 s6, s6, s51                                      // 000000002704: 80863306
	v_mov_b32_e32 v46, 0                                       // 000000002708: 7E5C0280
	v_mov_b32_e32 v47, 0                                       // 00000000270C: 7E5E0280
	v_mov_b32_e32 v48, 0                                       // 000000002710: 7E600280
	v_mov_b32_e32 v49, 0                                       // 000000002714: 7E620280
	v_mov_b32_e32 v50, 0                                       // 000000002718: 7E640280
	v_mov_b32_e32 v51, 0                                       // 00000000271C: 7E660280
	v_mov_b32_e32 v52, 0                                       // 000000002720: 7E680280
	v_mov_b32_e32 v53, 0                                       // 000000002724: 7E6A0280
	buffer_load_dwordx4 a[16:19], v32, s[8:11], 0 offen        // 000000002728: E05C1000 80821020
	buffer_load_dwordx4 a[20:23], v33, s[8:11], 0 offen        // 000000002730: E05C1000 80821421
	buffer_load_dwordx4 a[24:27], v34, s[8:11], 0 offen        // 000000002738: E05C1000 80821822
	buffer_load_dwordx4 a[28:31], v35, s[8:11], 0 offen        // 000000002740: E05C1000 80821C23
	s_mov_b32 s50, 0x80                                        // 000000002748: BEB200FF 00000080
	s_add_u32 s47, 0x80, s50                                   // 000000002750: 802F32FF 00000080
	s_cmp_lt_u32 s47, s34                                      // 000000002758: BF0A222F
	s_cselect_b32 s52, s52, 0                                  // 00000000275C: 85348034
	s_add_u32 s8, s52, s8                                      // 000000002760: 80080834
	s_addc_u32 s9, 0, s9                                       // 000000002764: 82090980
	s_sub_u32 s10, s10, s52                                    // 000000002768: 808A340A
	s_add_u32 m0, 0, s55                                       // 00000000276C: 807C3780
	buffer_load_dword v24, s[4:7], 0 offen lds                 // 000000002770: E0511000 80010018
	s_add_u32 m0, 0x100, s55                                   // 000000002778: 807C37FF 00000100
	buffer_load_dword v25, s[4:7], 0 offen lds                 // 000000002780: E0511000 80010019
	s_add_u32 m0, 0x200, s55                                   // 000000002788: 807C37FF 00000200
	buffer_load_dword v26, s[4:7], 0 offen lds                 // 000000002790: E0511000 8001001A
	s_add_u32 m0, 0x300, s55                                   // 000000002798: 807C37FF 00000300
	buffer_load_dword v27, s[4:7], 0 offen lds                 // 0000000027A0: E0511000 8001001B
	s_add_u32 m0, 0x400, s55                                   // 0000000027A8: 807C37FF 00000400
	buffer_load_dword v28, s[4:7], 0 offen lds                 // 0000000027B0: E0511000 8001001C
	s_add_u32 m0, 0x500, s55                                   // 0000000027B8: 807C37FF 00000500
	buffer_load_dword v29, s[4:7], 0 offen lds                 // 0000000027C0: E0511000 8001001D
	s_mov_b32 s50, 0x100                                       // 0000000027C8: BEB200FF 00000100
	s_add_u32 s47, 0x80, s50                                   // 0000000027D0: 802F32FF 00000080
	s_cmp_lt_u32 s47, s34                                      // 0000000027D8: BF0A222F
	s_cselect_b32 s51, s51, 0                                  // 0000000027DC: 85338033
	s_add_u32 s4, s51, s4                                      // 0000000027E0: 80040433
	s_addc_u32 s5, 0, s5                                       // 0000000027E4: 82050580
	s_sub_u32 s6, s6, s51                                      // 0000000027E8: 80863306
	v_mov_b32_e32 v54, 0                                       // 0000000027EC: 7E6C0280
	v_mov_b32_e32 v55, 0                                       // 0000000027F0: 7E6E0280
	v_mov_b32_e32 v56, 0                                       // 0000000027F4: 7E700280
	v_mov_b32_e32 v57, 0                                       // 0000000027F8: 7E720280
	v_mov_b32_e32 v58, 0                                       // 0000000027FC: 7E740280
	v_mov_b32_e32 v59, 0                                       // 000000002800: 7E760280
	v_mov_b32_e32 v60, 0                                       // 000000002804: 7E780280
	v_mov_b32_e32 v61, 0                                       // 000000002808: 7E7A0280
	s_mov_b32 s40, s34                                         // 00000000280C: BEA80022
	s_mov_b32 s39, 0                                           // 000000002810: BEA70080
	s_waitcnt vmcnt(20)                                        // 000000002814: BF8C4F74
	s_barrier                                                  // 000000002818: BF8A0000
	ds_read_b128 a[48:51], v30                                 // 00000000281C: DBFE0000 3000001E
	ds_read_b128 a[52:55], v30 offset:64                       // 000000002824: DBFE0040 3400001E
	ds_read_b128 a[56:59], v30 offset:512                      // 00000000282C: DBFE0200 3800001E
	ds_read_b128 a[60:63], v30 offset:576                      // 000000002834: DBFE0240 3C00001E
	ds_read_b128 a[64:67], v30 offset:1024                     // 00000000283C: DBFE0400 4000001E
	ds_read_b128 a[68:71], v30 offset:1088                     // 000000002844: DBFE0440 4400001E
	s_mov_b32 s47, 0                                           // 00000000284C: BEAF0080
	s_mov_b32 s48, 1.0                                         // 000000002850: BEB000F2
	s_cmp_eq_u32 s47, s75                                      // 000000002854: BF064B2F
	s_cselect_b32 s47, s48, 0                                  // 000000002858: 852F8030
	v_mul_f32_e64 v94, v94, s47                                // 00000000285C: D105005E 00005F5E
	v_mul_f32_e64 v95, v95, s47                                // 000000002864: D105005F 00005F5F
	v_mul_f32_e64 v96, v96, s47                                // 00000000286C: D1050060 00005F60
	v_mul_f32_e64 v97, v97, s47                                // 000000002874: D1050061 00005F61
	v_mul_f32_e64 v98, v98, s47                                // 00000000287C: D1050062 00005F62
	v_mul_f32_e64 v99, v99, s47                                // 000000002884: D1050063 00005F63
	v_mul_f32_e64 v100, v100, s47                              // 00000000288C: D1050064 00005F64
	v_mul_f32_e64 v101, v101, s47                              // 000000002894: D1050065 00005F65
	v_and_b32_e64 v16, v0, 15                                  // 00000000289C: D1130010 00011F00
	v_mul_lo_u32 v16, v16, s37                                 // 0000000028A4: D2850010 00004B10
	v_lshrrev_b32_e32 v4, 4, v0                                // 0000000028AC: 20080084
	v_mul_i32_i24_e32 v4, 8, v4                                // 0000000028B0: 0C080888
	v_add_u32_e32 v16, v4, v16                                 // 0000000028B4: 68202104
	s_mul_i32 s47, 32, s44                                     // 0000000028B8: 922F2CA0
	s_mul_i32 s47, 2, s47                                      // 0000000028BC: 922F2F82
	v_add_u32_e32 v16, s47, v16                                // 0000000028C0: 6820202F
	s_mul_i32 s47, 16, s37                                     // 0000000028C4: 922F2590
	v_add_u32_e32 v17, s47, v16                                // 0000000028C8: 6822202F
	v_add_u32_e32 v18, s47, v17                                // 0000000028CC: 6824222F
	s_mul_i32 s47, s44, s37                                    // 0000000028D0: 922F252C
	v_lshlrev_b32_e32 v5, 2, v0                                // 0000000028D4: 240A0082
	v_add_u32_e32 v19, s47, v5                                 // 0000000028D8: 68260A2F
	s_mul_i32 s47, s42, 48                                     // 0000000028DC: 922FB02A
	s_add_i32 s77, s47, s44                                    // 0000000028E0: 814D2C2F
	s_cmp_lt_i32 s39, s40                                      // 0000000028E4: BF042827
	s_cbranch_scc0 label_04D0                                  // 0000000028E8: BF840295

00000000000028ec <label_023B>:
	s_waitcnt vmcnt(10) lgkmcnt(0)                             // 0000000028EC: BF8C007A
	s_barrier                                                  // 0000000028F0: BF8A0000
	v_mfma_i32_16x16x32_i8 v[38:41], a[0:1], a[48:49], v[38:41]// 0000000028F4: D3D70026 1C9A6100
	s_add_u32 m0, 0, s53                                       // 0000000028FC: 807C3580
	buffer_load_dword v24, s[4:7], 0 offen lds                 // 000000002900: E0511000 80010018
	v_mfma_i32_16x16x32_i8 v[38:41], a[2:3], a[50:51], v[38:41]// 000000002908: D3D70026 1C9A6502
	ds_read_b128 a[72:75], v30 offset:6272                     // 000000002910: DBFE1880 4800001E
	v_mfma_i32_16x16x32_i8 v[38:41], a[4:5], a[52:53], v[38:41]// 000000002918: D3D70026 1C9A6904
	s_add_u32 m0, 0x100, s53                                   // 000000002920: 807C35FF 00000100
	buffer_load_dword v25, s[4:7], 0 offen lds                 // 000000002928: E0511000 80010019
	v_mfma_i32_16x16x32_i8 v[38:41], a[6:7], a[54:55], v[38:41]// 000000002930: D3D70026 1C9A6D06
	ds_read_b128 a[76:79], v30 offset:6336                     // 000000002938: DBFE18C0 4C00001E
	v_mfma_i32_16x16x32_i8 v[42:45], a[8:9], a[48:49], v[42:45]// 000000002940: D3D7002A 1CAA6108
	buffer_load_dwordx4 a[32:35], v32, s[8:11], 0 offen        // 000000002948: E05C1000 80822020
	v_mfma_i32_16x16x32_i8 v[42:45], a[10:11], a[50:51], v[42:45]// 000000002950: D3D7002A 1CAA650A
	v_mfma_i32_16x16x32_i8 v[42:45], a[12:13], a[52:53], v[42:45]// 000000002958: D3D7002A 1CAA690C
	buffer_load_dwordx4 a[36:39], v33, s[8:11], 0 offen        // 000000002960: E05C1000 80822421
	v_mfma_i32_16x16x32_i8 v[42:45], a[14:15], a[54:55], v[42:45]// 000000002968: D3D7002A 1CAA6D0E
	v_mfma_i32_16x16x32_i8 v[46:49], a[0:1], a[56:57], v[46:49]// 000000002970: D3D7002E 1CBA7100
	s_add_u32 m0, 0x200, s53                                   // 000000002978: 807C35FF 00000200
	buffer_load_dword v26, s[4:7], 0 offen lds                 // 000000002980: E0511000 8001001A
	v_mfma_i32_16x16x32_i8 v[46:49], a[2:3], a[58:59], v[46:49]// 000000002988: D3D7002E 1CBA7502
	ds_read_b128 a[80:83], v30 offset:6784                     // 000000002990: DBFE1A80 5000001E
	v_mfma_i32_16x16x32_i8 v[46:49], a[4:5], a[60:61], v[46:49]// 000000002998: D3D7002E 1CBA7904
	s_add_u32 m0, 0x300, s53                                   // 0000000029A0: 807C35FF 00000300
	buffer_load_dword v27, s[4:7], 0 offen lds                 // 0000000029A8: E0511000 8001001B
	v_mfma_i32_16x16x32_i8 v[46:49], a[6:7], a[62:63], v[46:49]// 0000000029B0: D3D7002E 1CBA7D06
	ds_read_b128 a[84:87], v30 offset:6848                     // 0000000029B8: DBFE1AC0 5400001E
	v_mfma_i32_16x16x32_i8 v[50:53], a[8:9], a[56:57], v[50:53]// 0000000029C0: D3D70032 1CCA7108
	buffer_load_dwordx4 a[40:43], v34, s[8:11], 0 offen        // 0000000029C8: E05C1000 80822822
	v_mfma_i32_16x16x32_i8 v[50:53], a[10:11], a[58:59], v[50:53]// 0000000029D0: D3D70032 1CCA750A
	v_mfma_i32_16x16x32_i8 v[50:53], a[12:13], a[60:61], v[50:53]// 0000000029D8: D3D70032 1CCA790C
	buffer_load_dwordx4 a[44:47], v35, s[8:11], 0 offen        // 0000000029E0: E05C1000 80822C23
	v_mfma_i32_16x16x32_i8 v[50:53], a[14:15], a[62:63], v[50:53]// 0000000029E8: D3D70032 1CCA7D0E
	v_mfma_i32_16x16x32_i8 v[54:57], a[0:1], a[64:65], v[54:57]// 0000000029F0: D3D70036 1CDA8100
	s_add_u32 m0, 0x400, s53                                   // 0000000029F8: 807C35FF 00000400
	buffer_load_dword v28, s[4:7], 0 offen lds                 // 000000002A00: E0511000 8001001C
	v_mfma_i32_16x16x32_i8 v[54:57], a[2:3], a[66:67], v[54:57]// 000000002A08: D3D70036 1CDA8502
	ds_read_b128 a[88:91], v30 offset:7296                     // 000000002A10: DBFE1C80 5800001E
	v_mfma_i32_16x16x32_i8 v[54:57], a[4:5], a[68:69], v[54:57]// 000000002A18: D3D70036 1CDA8904
	s_add_u32 m0, 0x500, s53                                   // 000000002A20: 807C35FF 00000500
	buffer_load_dword v29, s[4:7], 0 offen lds                 // 000000002A28: E0511000 8001001D
	v_mfma_i32_16x16x32_i8 v[54:57], a[6:7], a[70:71], v[54:57]// 000000002A30: D3D70036 1CDA8D06
	ds_read_b128 a[92:95], v30 offset:7360                     // 000000002A38: DBFE1CC0 5C00001E
	v_mfma_i32_16x16x32_i8 v[58:61], a[8:9], a[64:65], v[58:61]// 000000002A40: D3D7003A 1CEA8108
	v_mfma_i32_16x16x32_i8 v[58:61], a[10:11], a[66:67], v[58:61]// 000000002A48: D3D7003A 1CEA850A
	s_add_u32 s47, 0x200, s39                                  // 000000002A50: 802F27FF 00000200
	s_cmp_lt_u32 s47, s40                                      // 000000002A58: BF0A282F
	s_cselect_b32 s51, s51, 0                                  // 000000002A5C: 85338033
	s_add_u32 s47, 0x180, s39                                  // 000000002A60: 802F27FF 00000180
	s_cmp_lt_u32 s47, s40                                      // 000000002A68: BF0A282F
	s_cselect_b32 s52, s52, 0                                  // 000000002A6C: 85348034
	v_mfma_i32_16x16x32_i8 v[58:61], a[12:13], a[68:69], v[58:61]// 000000002A70: D3D7003A 1CEA890C
	v_mfma_i32_16x16x32_i8 v[58:61], a[14:15], a[70:71], v[58:61]// 000000002A78: D3D7003A 1CEA8D0E
	s_add_u32 s4, s51, s4                                      // 000000002A80: 80040433
	s_addc_u32 s5, 0, s5                                       // 000000002A84: 82050580
	s_sub_u32 s6, s6, s51                                      // 000000002A88: 80863306
	s_add_u32 s8, s52, s8                                      // 000000002A8C: 80080834
	s_addc_u32 s9, 0, s9                                       // 000000002A90: 82090980
	s_sub_u32 s10, s10, s52                                    // 000000002A94: 808A340A
	s_addk_i32 s39, 0x80                                       // 000000002A98: B7270080
	s_cmp_lt_i32 s39, s40                                      // 000000002A9C: BF042827
	s_cbranch_scc0 label_04D0                                  // 000000002AA0: BF840227
	s_waitcnt vmcnt(10) lgkmcnt(0)                             // 000000002AA4: BF8C007A
	s_barrier                                                  // 000000002AA8: BF8A0000
	v_mfma_i32_16x16x32_i8 v[38:41], a[16:17], a[72:73], v[38:41]// 000000002AAC: D3D70026 1C9A9110
	s_add_u32 m0, 0, s54                                       // 000000002AB4: 807C3680
	buffer_load_dword v24, s[4:7], 0 offen lds                 // 000000002AB8: E0511000 80010018
	v_mfma_i32_16x16x32_i8 v[38:41], a[18:19], a[74:75], v[38:41]// 000000002AC0: D3D70026 1C9A9512
	ds_read_b128 a[48:51], v30 offset:12544                    // 000000002AC8: DBFE3100 3000001E
	v_mfma_i32_16x16x32_i8 v[38:41], a[20:21], a[76:77], v[38:41]// 000000002AD0: D3D70026 1C9A9914
	s_add_u32 m0, 0x100, s54                                   // 000000002AD8: 807C36FF 00000100
	buffer_load_dword v25, s[4:7], 0 offen lds                 // 000000002AE0: E0511000 80010019
	v_mfma_i32_16x16x32_i8 v[38:41], a[22:23], a[78:79], v[38:41]// 000000002AE8: D3D70026 1C9A9D16
	ds_read_b128 a[52:55], v30 offset:12608                    // 000000002AF0: DBFE3140 3400001E
	v_mfma_i32_16x16x32_i8 v[42:45], a[24:25], a[72:73], v[42:45]// 000000002AF8: D3D7002A 1CAA9118
	buffer_load_dwordx4 a[0:3], v32, s[8:11], 0 offen          // 000000002B00: E05C1000 80820020
	v_mfma_i32_16x16x32_i8 v[42:45], a[26:27], a[74:75], v[42:45]// 000000002B08: D3D7002A 1CAA951A
	v_mfma_i32_16x16x32_i8 v[42:45], a[28:29], a[76:77], v[42:45]// 000000002B10: D3D7002A 1CAA991C
	buffer_load_dwordx4 a[4:7], v33, s[8:11], 0 offen          // 000000002B18: E05C1000 80820421
	v_mfma_i32_16x16x32_i8 v[42:45], a[30:31], a[78:79], v[42:45]// 000000002B20: D3D7002A 1CAA9D1E
	v_mfma_i32_16x16x32_i8 v[46:49], a[16:17], a[80:81], v[46:49]// 000000002B28: D3D7002E 1CBAA110
	s_add_u32 m0, 0x200, s54                                   // 000000002B30: 807C36FF 00000200
	buffer_load_dword v26, s[4:7], 0 offen lds                 // 000000002B38: E0511000 8001001A
	v_mfma_i32_16x16x32_i8 v[46:49], a[18:19], a[82:83], v[46:49]// 000000002B40: D3D7002E 1CBAA512
	ds_read_b128 a[56:59], v30 offset:13056                    // 000000002B48: DBFE3300 3800001E
	v_mfma_i32_16x16x32_i8 v[46:49], a[20:21], a[84:85], v[46:49]// 000000002B50: D3D7002E 1CBAA914
	s_add_u32 m0, 0x300, s54                                   // 000000002B58: 807C36FF 00000300
	buffer_load_dword v27, s[4:7], 0 offen lds                 // 000000002B60: E0511000 8001001B
	v_mfma_i32_16x16x32_i8 v[46:49], a[22:23], a[86:87], v[46:49]// 000000002B68: D3D7002E 1CBAAD16
	ds_read_b128 a[60:63], v30 offset:13120                    // 000000002B70: DBFE3340 3C00001E
	v_mfma_i32_16x16x32_i8 v[50:53], a[24:25], a[80:81], v[50:53]// 000000002B78: D3D70032 1CCAA118
	buffer_load_dwordx4 a[8:11], v34, s[8:11], 0 offen         // 000000002B80: E05C1000 80820822
	v_mfma_i32_16x16x32_i8 v[50:53], a[26:27], a[82:83], v[50:53]// 000000002B88: D3D70032 1CCAA51A
	v_mfma_i32_16x16x32_i8 v[50:53], a[28:29], a[84:85], v[50:53]// 000000002B90: D3D70032 1CCAA91C
	buffer_load_dwordx4 a[12:15], v35, s[8:11], 0 offen        // 000000002B98: E05C1000 80820C23
	v_mfma_i32_16x16x32_i8 v[50:53], a[30:31], a[86:87], v[50:53]// 000000002BA0: D3D70032 1CCAAD1E
	v_mfma_i32_16x16x32_i8 v[54:57], a[16:17], a[88:89], v[54:57]// 000000002BA8: D3D70036 1CDAB110
	s_add_u32 m0, 0x400, s54                                   // 000000002BB0: 807C36FF 00000400
	buffer_load_dword v28, s[4:7], 0 offen lds                 // 000000002BB8: E0511000 8001001C
	v_mfma_i32_16x16x32_i8 v[54:57], a[18:19], a[90:91], v[54:57]// 000000002BC0: D3D70036 1CDAB512
	ds_read_b128 a[64:67], v30 offset:13568                    // 000000002BC8: DBFE3500 4000001E
	v_mfma_i32_16x16x32_i8 v[54:57], a[20:21], a[92:93], v[54:57]// 000000002BD0: D3D70036 1CDAB914
	s_add_u32 m0, 0x500, s54                                   // 000000002BD8: 807C36FF 00000500
	buffer_load_dword v29, s[4:7], 0 offen lds                 // 000000002BE0: E0511000 8001001D
	v_mfma_i32_16x16x32_i8 v[54:57], a[22:23], a[94:95], v[54:57]// 000000002BE8: D3D70036 1CDABD16
	ds_read_b128 a[68:71], v30 offset:13632                    // 000000002BF0: DBFE3540 4400001E
	v_mfma_i32_16x16x32_i8 v[58:61], a[24:25], a[88:89], v[58:61]// 000000002BF8: D3D7003A 1CEAB118
	v_mfma_i32_16x16x32_i8 v[58:61], a[26:27], a[90:91], v[58:61]// 000000002C00: D3D7003A 1CEAB51A
	s_add_u32 s47, 0x200, s39                                  // 000000002C08: 802F27FF 00000200
	s_cmp_lt_u32 s47, s40                                      // 000000002C10: BF0A282F
	s_cselect_b32 s51, s51, 0                                  // 000000002C14: 85338033
	s_add_u32 s47, 0x180, s39                                  // 000000002C18: 802F27FF 00000180
	s_cmp_lt_u32 s47, s40                                      // 000000002C20: BF0A282F
	s_cselect_b32 s52, s52, 0                                  // 000000002C24: 85348034
	v_mfma_i32_16x16x32_i8 v[58:61], a[28:29], a[92:93], v[58:61]// 000000002C28: D3D7003A 1CEAB91C
	v_mfma_i32_16x16x32_i8 v[58:61], a[30:31], a[94:95], v[58:61]// 000000002C30: D3D7003A 1CEABD1E
	s_add_u32 s4, s51, s4                                      // 000000002C38: 80040433
	s_addc_u32 s5, 0, s5                                       // 000000002C3C: 82050580
	s_sub_u32 s6, s6, s51                                      // 000000002C40: 80863306
	s_add_u32 s8, s52, s8                                      // 000000002C44: 80080834
	s_addc_u32 s9, 0, s9                                       // 000000002C48: 82090980
	s_sub_u32 s10, s10, s52                                    // 000000002C4C: 808A340A
	s_addk_i32 s39, 0x80                                       // 000000002C50: B7270080
	s_cmp_lt_i32 s39, s40                                      // 000000002C54: BF042827
	s_cbranch_scc0 label_04D0                                  // 000000002C58: BF8401B9
	s_waitcnt vmcnt(10) lgkmcnt(0)                             // 000000002C5C: BF8C007A
	s_barrier                                                  // 000000002C60: BF8A0000
	v_mfma_i32_16x16x32_i8 v[38:41], a[32:33], a[48:49], v[38:41]// 000000002C64: D3D70026 1C9A6120
	s_add_u32 m0, 0, s55                                       // 000000002C6C: 807C3780
	buffer_load_dword v24, s[4:7], 0 offen lds                 // 000000002C70: E0511000 80010018
	v_mfma_i32_16x16x32_i8 v[38:41], a[34:35], a[50:51], v[38:41]// 000000002C78: D3D70026 1C9A6522
	ds_read_b128 a[72:75], v30                                 // 000000002C80: DBFE0000 4800001E
	v_mfma_i32_16x16x32_i8 v[38:41], a[36:37], a[52:53], v[38:41]// 000000002C88: D3D70026 1C9A6924
	s_add_u32 m0, 0x100, s55                                   // 000000002C90: 807C37FF 00000100
	buffer_load_dword v25, s[4:7], 0 offen lds                 // 000000002C98: E0511000 80010019
	v_mfma_i32_16x16x32_i8 v[38:41], a[38:39], a[54:55], v[38:41]// 000000002CA0: D3D70026 1C9A6D26
	ds_read_b128 a[76:79], v30 offset:64                       // 000000002CA8: DBFE0040 4C00001E
	v_mfma_i32_16x16x32_i8 v[42:45], a[40:41], a[48:49], v[42:45]// 000000002CB0: D3D7002A 1CAA6128
	buffer_load_dwordx4 a[16:19], v32, s[8:11], 0 offen        // 000000002CB8: E05C1000 80821020
	v_mfma_i32_16x16x32_i8 v[42:45], a[42:43], a[50:51], v[42:45]// 000000002CC0: D3D7002A 1CAA652A
	v_mfma_i32_16x16x32_i8 v[42:45], a[44:45], a[52:53], v[42:45]// 000000002CC8: D3D7002A 1CAA692C
	buffer_load_dwordx4 a[20:23], v33, s[8:11], 0 offen        // 000000002CD0: E05C1000 80821421
	v_mfma_i32_16x16x32_i8 v[42:45], a[46:47], a[54:55], v[42:45]// 000000002CD8: D3D7002A 1CAA6D2E
	v_mfma_i32_16x16x32_i8 v[46:49], a[32:33], a[56:57], v[46:49]// 000000002CE0: D3D7002E 1CBA7120
	s_add_u32 m0, 0x200, s55                                   // 000000002CE8: 807C37FF 00000200
	buffer_load_dword v26, s[4:7], 0 offen lds                 // 000000002CF0: E0511000 8001001A
	v_mfma_i32_16x16x32_i8 v[46:49], a[34:35], a[58:59], v[46:49]// 000000002CF8: D3D7002E 1CBA7522
	ds_read_b128 a[80:83], v30 offset:512                      // 000000002D00: DBFE0200 5000001E
	v_mfma_i32_16x16x32_i8 v[46:49], a[36:37], a[60:61], v[46:49]// 000000002D08: D3D7002E 1CBA7924
	s_add_u32 m0, 0x300, s55                                   // 000000002D10: 807C37FF 00000300
	buffer_load_dword v27, s[4:7], 0 offen lds                 // 000000002D18: E0511000 8001001B
	v_mfma_i32_16x16x32_i8 v[46:49], a[38:39], a[62:63], v[46:49]// 000000002D20: D3D7002E 1CBA7D26
	ds_read_b128 a[84:87], v30 offset:576                      // 000000002D28: DBFE0240 5400001E
	v_mfma_i32_16x16x32_i8 v[50:53], a[40:41], a[56:57], v[50:53]// 000000002D30: D3D70032 1CCA7128
	buffer_load_dwordx4 a[24:27], v34, s[8:11], 0 offen        // 000000002D38: E05C1000 80821822
	v_mfma_i32_16x16x32_i8 v[50:53], a[42:43], a[58:59], v[50:53]// 000000002D40: D3D70032 1CCA752A
	v_mfma_i32_16x16x32_i8 v[50:53], a[44:45], a[60:61], v[50:53]// 000000002D48: D3D70032 1CCA792C
	buffer_load_dwordx4 a[28:31], v35, s[8:11], 0 offen        // 000000002D50: E05C1000 80821C23
	v_mfma_i32_16x16x32_i8 v[50:53], a[46:47], a[62:63], v[50:53]// 000000002D58: D3D70032 1CCA7D2E
	v_mfma_i32_16x16x32_i8 v[54:57], a[32:33], a[64:65], v[54:57]// 000000002D60: D3D70036 1CDA8120
	s_add_u32 m0, 0x400, s55                                   // 000000002D68: 807C37FF 00000400
	buffer_load_dword v28, s[4:7], 0 offen lds                 // 000000002D70: E0511000 8001001C
	v_mfma_i32_16x16x32_i8 v[54:57], a[34:35], a[66:67], v[54:57]// 000000002D78: D3D70036 1CDA8522
	ds_read_b128 a[88:91], v30 offset:1024                     // 000000002D80: DBFE0400 5800001E
	v_mfma_i32_16x16x32_i8 v[54:57], a[36:37], a[68:69], v[54:57]// 000000002D88: D3D70036 1CDA8924
	s_add_u32 m0, 0x500, s55                                   // 000000002D90: 807C37FF 00000500
	buffer_load_dword v29, s[4:7], 0 offen lds                 // 000000002D98: E0511000 8001001D
	v_mfma_i32_16x16x32_i8 v[54:57], a[38:39], a[70:71], v[54:57]// 000000002DA0: D3D70036 1CDA8D26
	ds_read_b128 a[92:95], v30 offset:1088                     // 000000002DA8: DBFE0440 5C00001E
	v_mfma_i32_16x16x32_i8 v[58:61], a[40:41], a[64:65], v[58:61]// 000000002DB0: D3D7003A 1CEA8128
	v_mfma_i32_16x16x32_i8 v[58:61], a[42:43], a[66:67], v[58:61]// 000000002DB8: D3D7003A 1CEA852A
	s_add_u32 s47, 0x200, s39                                  // 000000002DC0: 802F27FF 00000200
	s_cmp_lt_u32 s47, s40                                      // 000000002DC8: BF0A282F
	s_cselect_b32 s51, s51, 0                                  // 000000002DCC: 85338033
	s_add_u32 s47, 0x180, s39                                  // 000000002DD0: 802F27FF 00000180
	s_cmp_lt_u32 s47, s40                                      // 000000002DD8: BF0A282F
	s_cselect_b32 s52, s52, 0                                  // 000000002DDC: 85348034
	v_mfma_i32_16x16x32_i8 v[58:61], a[44:45], a[68:69], v[58:61]// 000000002DE0: D3D7003A 1CEA892C
	v_mfma_i32_16x16x32_i8 v[58:61], a[46:47], a[70:71], v[58:61]// 000000002DE8: D3D7003A 1CEA8D2E
	s_add_u32 s4, s51, s4                                      // 000000002DF0: 80040433
	s_addc_u32 s5, 0, s5                                       // 000000002DF4: 82050580
	s_sub_u32 s6, s6, s51                                      // 000000002DF8: 80863306
	s_add_u32 s8, s52, s8                                      // 000000002DFC: 80080834
	s_addc_u32 s9, 0, s9                                       // 000000002E00: 82090980
	s_sub_u32 s10, s10, s52                                    // 000000002E04: 808A340A
	s_addk_i32 s39, 0x80                                       // 000000002E08: B7270080
	s_cmp_lt_i32 s39, s40                                      // 000000002E0C: BF042827
	s_cbranch_scc0 label_04D0                                  // 000000002E10: BF84014B
	s_waitcnt vmcnt(10) lgkmcnt(0)                             // 000000002E14: BF8C007A
	s_barrier                                                  // 000000002E18: BF8A0000
	v_mfma_i32_16x16x32_i8 v[38:41], a[0:1], a[72:73], v[38:41]// 000000002E1C: D3D70026 1C9A9100
	s_add_u32 m0, 0, s53                                       // 000000002E24: 807C3580
	buffer_load_dword v24, s[4:7], 0 offen lds                 // 000000002E28: E0511000 80010018
	v_mfma_i32_16x16x32_i8 v[38:41], a[2:3], a[74:75], v[38:41]// 000000002E30: D3D70026 1C9A9502
	ds_read_b128 a[48:51], v30 offset:6272                     // 000000002E38: DBFE1880 3000001E
	v_mfma_i32_16x16x32_i8 v[38:41], a[4:5], a[76:77], v[38:41]// 000000002E40: D3D70026 1C9A9904
	s_add_u32 m0, 0x100, s53                                   // 000000002E48: 807C35FF 00000100
	buffer_load_dword v25, s[4:7], 0 offen lds                 // 000000002E50: E0511000 80010019
	v_mfma_i32_16x16x32_i8 v[38:41], a[6:7], a[78:79], v[38:41]// 000000002E58: D3D70026 1C9A9D06
	ds_read_b128 a[52:55], v30 offset:6336                     // 000000002E60: DBFE18C0 3400001E
	v_mfma_i32_16x16x32_i8 v[42:45], a[8:9], a[72:73], v[42:45]// 000000002E68: D3D7002A 1CAA9108
	buffer_load_dwordx4 a[32:35], v32, s[8:11], 0 offen        // 000000002E70: E05C1000 80822020
	v_mfma_i32_16x16x32_i8 v[42:45], a[10:11], a[74:75], v[42:45]// 000000002E78: D3D7002A 1CAA950A
	v_mfma_i32_16x16x32_i8 v[42:45], a[12:13], a[76:77], v[42:45]// 000000002E80: D3D7002A 1CAA990C
	buffer_load_dwordx4 a[36:39], v33, s[8:11], 0 offen        // 000000002E88: E05C1000 80822421
	v_mfma_i32_16x16x32_i8 v[42:45], a[14:15], a[78:79], v[42:45]// 000000002E90: D3D7002A 1CAA9D0E
	v_mfma_i32_16x16x32_i8 v[46:49], a[0:1], a[80:81], v[46:49]// 000000002E98: D3D7002E 1CBAA100
	s_add_u32 m0, 0x200, s53                                   // 000000002EA0: 807C35FF 00000200
	buffer_load_dword v26, s[4:7], 0 offen lds                 // 000000002EA8: E0511000 8001001A
	v_mfma_i32_16x16x32_i8 v[46:49], a[2:3], a[82:83], v[46:49]// 000000002EB0: D3D7002E 1CBAA502
	ds_read_b128 a[56:59], v30 offset:6784                     // 000000002EB8: DBFE1A80 3800001E
	v_mfma_i32_16x16x32_i8 v[46:49], a[4:5], a[84:85], v[46:49]// 000000002EC0: D3D7002E 1CBAA904
	s_add_u32 m0, 0x300, s53                                   // 000000002EC8: 807C35FF 00000300
	buffer_load_dword v27, s[4:7], 0 offen lds                 // 000000002ED0: E0511000 8001001B
	v_mfma_i32_16x16x32_i8 v[46:49], a[6:7], a[86:87], v[46:49]// 000000002ED8: D3D7002E 1CBAAD06
	ds_read_b128 a[60:63], v30 offset:6848                     // 000000002EE0: DBFE1AC0 3C00001E
	v_mfma_i32_16x16x32_i8 v[50:53], a[8:9], a[80:81], v[50:53]// 000000002EE8: D3D70032 1CCAA108
	buffer_load_dwordx4 a[40:43], v34, s[8:11], 0 offen        // 000000002EF0: E05C1000 80822822
	v_mfma_i32_16x16x32_i8 v[50:53], a[10:11], a[82:83], v[50:53]// 000000002EF8: D3D70032 1CCAA50A
	v_mfma_i32_16x16x32_i8 v[50:53], a[12:13], a[84:85], v[50:53]// 000000002F00: D3D70032 1CCAA90C
	buffer_load_dwordx4 a[44:47], v35, s[8:11], 0 offen        // 000000002F08: E05C1000 80822C23
	v_mfma_i32_16x16x32_i8 v[50:53], a[14:15], a[86:87], v[50:53]// 000000002F10: D3D70032 1CCAAD0E
	v_mfma_i32_16x16x32_i8 v[54:57], a[0:1], a[88:89], v[54:57]// 000000002F18: D3D70036 1CDAB100
	s_add_u32 m0, 0x400, s53                                   // 000000002F20: 807C35FF 00000400
	buffer_load_dword v28, s[4:7], 0 offen lds                 // 000000002F28: E0511000 8001001C
	v_mfma_i32_16x16x32_i8 v[54:57], a[2:3], a[90:91], v[54:57]// 000000002F30: D3D70036 1CDAB502
	ds_read_b128 a[64:67], v30 offset:7296                     // 000000002F38: DBFE1C80 4000001E
	v_mfma_i32_16x16x32_i8 v[54:57], a[4:5], a[92:93], v[54:57]// 000000002F40: D3D70036 1CDAB904
	s_add_u32 m0, 0x500, s53                                   // 000000002F48: 807C35FF 00000500
	buffer_load_dword v29, s[4:7], 0 offen lds                 // 000000002F50: E0511000 8001001D
	v_mfma_i32_16x16x32_i8 v[54:57], a[6:7], a[94:95], v[54:57]// 000000002F58: D3D70036 1CDABD06
	ds_read_b128 a[68:71], v30 offset:7360                     // 000000002F60: DBFE1CC0 4400001E
	v_mfma_i32_16x16x32_i8 v[58:61], a[8:9], a[88:89], v[58:61]// 000000002F68: D3D7003A 1CEAB108
	v_mfma_i32_16x16x32_i8 v[58:61], a[10:11], a[90:91], v[58:61]// 000000002F70: D3D7003A 1CEAB50A
	s_add_u32 s47, 0x200, s39                                  // 000000002F78: 802F27FF 00000200
	s_cmp_lt_u32 s47, s40                                      // 000000002F80: BF0A282F
	s_cselect_b32 s51, s51, 0                                  // 000000002F84: 85338033
	s_add_u32 s47, 0x180, s39                                  // 000000002F88: 802F27FF 00000180
	s_cmp_lt_u32 s47, s40                                      // 000000002F90: BF0A282F
	s_cselect_b32 s52, s52, 0                                  // 000000002F94: 85348034
	v_mfma_i32_16x16x32_i8 v[58:61], a[12:13], a[92:93], v[58:61]// 000000002F98: D3D7003A 1CEAB90C
	v_mfma_i32_16x16x32_i8 v[58:61], a[14:15], a[94:95], v[58:61]// 000000002FA0: D3D7003A 1CEABD0E
	s_add_u32 s4, s51, s4                                      // 000000002FA8: 80040433
	s_addc_u32 s5, 0, s5                                       // 000000002FAC: 82050580
	s_sub_u32 s6, s6, s51                                      // 000000002FB0: 80863306
	s_add_u32 s8, s52, s8                                      // 000000002FB4: 80080834
	s_addc_u32 s9, 0, s9                                       // 000000002FB8: 82090980
	s_sub_u32 s10, s10, s52                                    // 000000002FBC: 808A340A
	s_addk_i32 s39, 0x80                                       // 000000002FC0: B7270080
	s_cmp_lt_i32 s39, s40                                      // 000000002FC4: BF042827
	s_cbranch_scc0 label_04D0                                  // 000000002FC8: BF8400DD
	s_waitcnt vmcnt(10) lgkmcnt(0)                             // 000000002FCC: BF8C007A
	s_barrier                                                  // 000000002FD0: BF8A0000
	v_mfma_i32_16x16x32_i8 v[38:41], a[16:17], a[48:49], v[38:41]// 000000002FD4: D3D70026 1C9A6110
	s_add_u32 m0, 0, s54                                       // 000000002FDC: 807C3680
	buffer_load_dword v24, s[4:7], 0 offen lds                 // 000000002FE0: E0511000 80010018
	v_mfma_i32_16x16x32_i8 v[38:41], a[18:19], a[50:51], v[38:41]// 000000002FE8: D3D70026 1C9A6512
	ds_read_b128 a[72:75], v30 offset:12544                    // 000000002FF0: DBFE3100 4800001E
	v_mfma_i32_16x16x32_i8 v[38:41], a[20:21], a[52:53], v[38:41]// 000000002FF8: D3D70026 1C9A6914
	s_add_u32 m0, 0x100, s54                                   // 000000003000: 807C36FF 00000100
	buffer_load_dword v25, s[4:7], 0 offen lds                 // 000000003008: E0511000 80010019
	v_mfma_i32_16x16x32_i8 v[38:41], a[22:23], a[54:55], v[38:41]// 000000003010: D3D70026 1C9A6D16
	ds_read_b128 a[76:79], v30 offset:12608                    // 000000003018: DBFE3140 4C00001E
	v_mfma_i32_16x16x32_i8 v[42:45], a[24:25], a[48:49], v[42:45]// 000000003020: D3D7002A 1CAA6118
	buffer_load_dwordx4 a[0:3], v32, s[8:11], 0 offen          // 000000003028: E05C1000 80820020
	v_mfma_i32_16x16x32_i8 v[42:45], a[26:27], a[50:51], v[42:45]// 000000003030: D3D7002A 1CAA651A
	v_mfma_i32_16x16x32_i8 v[42:45], a[28:29], a[52:53], v[42:45]// 000000003038: D3D7002A 1CAA691C
	buffer_load_dwordx4 a[4:7], v33, s[8:11], 0 offen          // 000000003040: E05C1000 80820421
	v_mfma_i32_16x16x32_i8 v[42:45], a[30:31], a[54:55], v[42:45]// 000000003048: D3D7002A 1CAA6D1E
	v_mfma_i32_16x16x32_i8 v[46:49], a[16:17], a[56:57], v[46:49]// 000000003050: D3D7002E 1CBA7110
	s_add_u32 m0, 0x200, s54                                   // 000000003058: 807C36FF 00000200
	buffer_load_dword v26, s[4:7], 0 offen lds                 // 000000003060: E0511000 8001001A
	v_mfma_i32_16x16x32_i8 v[46:49], a[18:19], a[58:59], v[46:49]// 000000003068: D3D7002E 1CBA7512
	ds_read_b128 a[80:83], v30 offset:13056                    // 000000003070: DBFE3300 5000001E
	v_mfma_i32_16x16x32_i8 v[46:49], a[20:21], a[60:61], v[46:49]// 000000003078: D3D7002E 1CBA7914
	s_add_u32 m0, 0x300, s54                                   // 000000003080: 807C36FF 00000300
	buffer_load_dword v27, s[4:7], 0 offen lds                 // 000000003088: E0511000 8001001B
	v_mfma_i32_16x16x32_i8 v[46:49], a[22:23], a[62:63], v[46:49]// 000000003090: D3D7002E 1CBA7D16
	ds_read_b128 a[84:87], v30 offset:13120                    // 000000003098: DBFE3340 5400001E
	v_mfma_i32_16x16x32_i8 v[50:53], a[24:25], a[56:57], v[50:53]// 0000000030A0: D3D70032 1CCA7118
	buffer_load_dwordx4 a[8:11], v34, s[8:11], 0 offen         // 0000000030A8: E05C1000 80820822
	v_mfma_i32_16x16x32_i8 v[50:53], a[26:27], a[58:59], v[50:53]// 0000000030B0: D3D70032 1CCA751A
	v_mfma_i32_16x16x32_i8 v[50:53], a[28:29], a[60:61], v[50:53]// 0000000030B8: D3D70032 1CCA791C
	buffer_load_dwordx4 a[12:15], v35, s[8:11], 0 offen        // 0000000030C0: E05C1000 80820C23
	v_mfma_i32_16x16x32_i8 v[50:53], a[30:31], a[62:63], v[50:53]// 0000000030C8: D3D70032 1CCA7D1E
	v_mfma_i32_16x16x32_i8 v[54:57], a[16:17], a[64:65], v[54:57]// 0000000030D0: D3D70036 1CDA8110
	s_add_u32 m0, 0x400, s54                                   // 0000000030D8: 807C36FF 00000400
	buffer_load_dword v28, s[4:7], 0 offen lds                 // 0000000030E0: E0511000 8001001C
	v_mfma_i32_16x16x32_i8 v[54:57], a[18:19], a[66:67], v[54:57]// 0000000030E8: D3D70036 1CDA8512
	ds_read_b128 a[88:91], v30 offset:13568                    // 0000000030F0: DBFE3500 5800001E
	v_mfma_i32_16x16x32_i8 v[54:57], a[20:21], a[68:69], v[54:57]// 0000000030F8: D3D70036 1CDA8914
	s_add_u32 m0, 0x500, s54                                   // 000000003100: 807C36FF 00000500
	buffer_load_dword v29, s[4:7], 0 offen lds                 // 000000003108: E0511000 8001001D
	v_mfma_i32_16x16x32_i8 v[54:57], a[22:23], a[70:71], v[54:57]// 000000003110: D3D70036 1CDA8D16
	ds_read_b128 a[92:95], v30 offset:13632                    // 000000003118: DBFE3540 5C00001E
	v_mfma_i32_16x16x32_i8 v[58:61], a[24:25], a[64:65], v[58:61]// 000000003120: D3D7003A 1CEA8118
	v_mfma_i32_16x16x32_i8 v[58:61], a[26:27], a[66:67], v[58:61]// 000000003128: D3D7003A 1CEA851A
	s_add_u32 s47, 0x200, s39                                  // 000000003130: 802F27FF 00000200
	s_cmp_lt_u32 s47, s40                                      // 000000003138: BF0A282F
	s_cselect_b32 s51, s51, 0                                  // 00000000313C: 85338033
	s_add_u32 s47, 0x180, s39                                  // 000000003140: 802F27FF 00000180
	s_cmp_lt_u32 s47, s40                                      // 000000003148: BF0A282F
	s_cselect_b32 s52, s52, 0                                  // 00000000314C: 85348034
	v_mfma_i32_16x16x32_i8 v[58:61], a[28:29], a[68:69], v[58:61]// 000000003150: D3D7003A 1CEA891C
	v_mfma_i32_16x16x32_i8 v[58:61], a[30:31], a[70:71], v[58:61]// 000000003158: D3D7003A 1CEA8D1E
	s_add_u32 s4, s51, s4                                      // 000000003160: 80040433
	s_addc_u32 s5, 0, s5                                       // 000000003164: 82050580
	s_sub_u32 s6, s6, s51                                      // 000000003168: 80863306
	s_add_u32 s8, s52, s8                                      // 00000000316C: 80080834
	s_addc_u32 s9, 0, s9                                       // 000000003170: 82090980
	s_sub_u32 s10, s10, s52                                    // 000000003174: 808A340A
	s_addk_i32 s39, 0x80                                       // 000000003178: B7270080
	s_cmp_lt_i32 s39, s40                                      // 00000000317C: BF042827
	s_cbranch_scc0 label_04D0                                  // 000000003180: BF84006F
	s_waitcnt vmcnt(10) lgkmcnt(0)                             // 000000003184: BF8C007A
	s_barrier                                                  // 000000003188: BF8A0000
	v_mfma_i32_16x16x32_i8 v[38:41], a[32:33], a[72:73], v[38:41]// 00000000318C: D3D70026 1C9A9120
	s_add_u32 m0, 0, s55                                       // 000000003194: 807C3780
	buffer_load_dword v24, s[4:7], 0 offen lds                 // 000000003198: E0511000 80010018
	v_mfma_i32_16x16x32_i8 v[38:41], a[34:35], a[74:75], v[38:41]// 0000000031A0: D3D70026 1C9A9522
	ds_read_b128 a[48:51], v30                                 // 0000000031A8: DBFE0000 3000001E
	v_mfma_i32_16x16x32_i8 v[38:41], a[36:37], a[76:77], v[38:41]// 0000000031B0: D3D70026 1C9A9924
	s_add_u32 m0, 0x100, s55                                   // 0000000031B8: 807C37FF 00000100
	buffer_load_dword v25, s[4:7], 0 offen lds                 // 0000000031C0: E0511000 80010019
	v_mfma_i32_16x16x32_i8 v[38:41], a[38:39], a[78:79], v[38:41]// 0000000031C8: D3D70026 1C9A9D26
	ds_read_b128 a[52:55], v30 offset:64                       // 0000000031D0: DBFE0040 3400001E
	v_mfma_i32_16x16x32_i8 v[42:45], a[40:41], a[72:73], v[42:45]// 0000000031D8: D3D7002A 1CAA9128
	buffer_load_dwordx4 a[16:19], v32, s[8:11], 0 offen        // 0000000031E0: E05C1000 80821020
	v_mfma_i32_16x16x32_i8 v[42:45], a[42:43], a[74:75], v[42:45]// 0000000031E8: D3D7002A 1CAA952A
	v_mfma_i32_16x16x32_i8 v[42:45], a[44:45], a[76:77], v[42:45]// 0000000031F0: D3D7002A 1CAA992C
	buffer_load_dwordx4 a[20:23], v33, s[8:11], 0 offen        // 0000000031F8: E05C1000 80821421
	v_mfma_i32_16x16x32_i8 v[42:45], a[46:47], a[78:79], v[42:45]// 000000003200: D3D7002A 1CAA9D2E
	v_mfma_i32_16x16x32_i8 v[46:49], a[32:33], a[80:81], v[46:49]// 000000003208: D3D7002E 1CBAA120
	s_add_u32 m0, 0x200, s55                                   // 000000003210: 807C37FF 00000200
	buffer_load_dword v26, s[4:7], 0 offen lds                 // 000000003218: E0511000 8001001A
	v_mfma_i32_16x16x32_i8 v[46:49], a[34:35], a[82:83], v[46:49]// 000000003220: D3D7002E 1CBAA522
	ds_read_b128 a[56:59], v30 offset:512                      // 000000003228: DBFE0200 3800001E
	v_mfma_i32_16x16x32_i8 v[46:49], a[36:37], a[84:85], v[46:49]// 000000003230: D3D7002E 1CBAA924
	s_add_u32 m0, 0x300, s55                                   // 000000003238: 807C37FF 00000300
	buffer_load_dword v27, s[4:7], 0 offen lds                 // 000000003240: E0511000 8001001B
	v_mfma_i32_16x16x32_i8 v[46:49], a[38:39], a[86:87], v[46:49]// 000000003248: D3D7002E 1CBAAD26
	ds_read_b128 a[60:63], v30 offset:576                      // 000000003250: DBFE0240 3C00001E
	v_mfma_i32_16x16x32_i8 v[50:53], a[40:41], a[80:81], v[50:53]// 000000003258: D3D70032 1CCAA128
	buffer_load_dwordx4 a[24:27], v34, s[8:11], 0 offen        // 000000003260: E05C1000 80821822
	v_mfma_i32_16x16x32_i8 v[50:53], a[42:43], a[82:83], v[50:53]// 000000003268: D3D70032 1CCAA52A
	v_mfma_i32_16x16x32_i8 v[50:53], a[44:45], a[84:85], v[50:53]// 000000003270: D3D70032 1CCAA92C
	buffer_load_dwordx4 a[28:31], v35, s[8:11], 0 offen        // 000000003278: E05C1000 80821C23
	v_mfma_i32_16x16x32_i8 v[50:53], a[46:47], a[86:87], v[50:53]// 000000003280: D3D70032 1CCAAD2E
	v_mfma_i32_16x16x32_i8 v[54:57], a[32:33], a[88:89], v[54:57]// 000000003288: D3D70036 1CDAB120
	s_add_u32 m0, 0x400, s55                                   // 000000003290: 807C37FF 00000400
	buffer_load_dword v28, s[4:7], 0 offen lds                 // 000000003298: E0511000 8001001C
	v_mfma_i32_16x16x32_i8 v[54:57], a[34:35], a[90:91], v[54:57]// 0000000032A0: D3D70036 1CDAB522
	ds_read_b128 a[64:67], v30 offset:1024                     // 0000000032A8: DBFE0400 4000001E
	v_mfma_i32_16x16x32_i8 v[54:57], a[36:37], a[92:93], v[54:57]// 0000000032B0: D3D70036 1CDAB924
	s_add_u32 m0, 0x500, s55                                   // 0000000032B8: 807C37FF 00000500
	buffer_load_dword v29, s[4:7], 0 offen lds                 // 0000000032C0: E0511000 8001001D
	v_mfma_i32_16x16x32_i8 v[54:57], a[38:39], a[94:95], v[54:57]// 0000000032C8: D3D70036 1CDABD26
	ds_read_b128 a[68:71], v30 offset:1088                     // 0000000032D0: DBFE0440 4400001E
	v_mfma_i32_16x16x32_i8 v[58:61], a[40:41], a[88:89], v[58:61]// 0000000032D8: D3D7003A 1CEAB128
	v_mfma_i32_16x16x32_i8 v[58:61], a[42:43], a[90:91], v[58:61]// 0000000032E0: D3D7003A 1CEAB52A
	s_add_u32 s47, 0x200, s39                                  // 0000000032E8: 802F27FF 00000200
	s_cmp_lt_u32 s47, s40                                      // 0000000032F0: BF0A282F
	s_cselect_b32 s51, s51, 0                                  // 0000000032F4: 85338033
	s_add_u32 s47, 0x180, s39                                  // 0000000032F8: 802F27FF 00000180
	s_cmp_lt_u32 s47, s40                                      // 000000003300: BF0A282F
	s_cselect_b32 s52, s52, 0                                  // 000000003304: 85348034
	v_mfma_i32_16x16x32_i8 v[58:61], a[44:45], a[92:93], v[58:61]// 000000003308: D3D7003A 1CEAB92C
	v_mfma_i32_16x16x32_i8 v[58:61], a[46:47], a[94:95], v[58:61]// 000000003310: D3D7003A 1CEABD2E
	s_add_u32 s4, s51, s4                                      // 000000003318: 80040433
	s_addc_u32 s5, 0, s5                                       // 00000000331C: 82050580
	s_sub_u32 s6, s6, s51                                      // 000000003320: 80863306
	s_add_u32 s8, s52, s8                                      // 000000003324: 80080834
	s_addc_u32 s9, 0, s9                                       // 000000003328: 82090980
	s_sub_u32 s10, s10, s52                                    // 00000000332C: 808A340A
	s_addk_i32 s39, 0x80                                       // 000000003330: B7270080
	s_cmp_lt_i32 s39, s40                                      // 000000003334: BF042827
	s_cbranch_scc0 label_04D0                                  // 000000003338: BF840001
	s_branch label_023B                                        // 00000000333C: BF82FD6B

0000000000003340 <label_04D0>:
	s_cmp_eq_u32 s38, 1                                        // 000000003340: BF068126
	s_cbranch_scc1 label_05E5                                  // 000000003344: BF850113
	v_cvt_f32_i32_e32 v38, v38                                 // 000000003348: 7E4C0B26
	v_cvt_f32_i32_e32 v39, v39                                 // 00000000334C: 7E4E0B27
	v_pk_mul_f32 v[38:39], v[38:39], v[80:81]                  // 000000003350: D3B14026 1802A126
	v_fma_f32 v38, v38, v74, v94                               // 000000003358: D1CB0026 057A9526
	v_fma_f32 v39, v39, v74, v95                               // 000000003360: D1CB0027 057E9527
	v_perm_b32 v62, v39, v38, s45                              // 000000003368: D1ED003E 00B64D27
	v_cvt_f32_i32_e32 v40, v40                                 // 000000003370: 7E500B28
	v_cvt_f32_i32_e32 v41, v41                                 // 000000003374: 7E520B29
	v_pk_mul_f32 v[40:41], v[40:41], v[82:83]                  // 000000003378: D3B14028 1802A528
	v_fma_f32 v40, v40, v74, v96                               // 000000003380: D1CB0028 05829528
	v_fma_f32 v41, v41, v74, v97                               // 000000003388: D1CB0029 05869529
	v_perm_b32 v63, v41, v40, s45                              // 000000003390: D1ED003F 00B65129
	v_cvt_f32_i32_e32 v42, v42                                 // 000000003398: 7E540B2A
	v_cvt_f32_i32_e32 v43, v43                                 // 00000000339C: 7E560B2B
	v_pk_mul_f32 v[42:43], v[42:43], v[84:85]                  // 0000000033A0: D3B1402A 1802A92A
	v_fma_f32 v42, v42, v74, v98                               // 0000000033A8: D1CB002A 058A952A
	v_fma_f32 v43, v43, v74, v99                               // 0000000033B0: D1CB002B 058E952B
	v_perm_b32 v64, v43, v42, s45                              // 0000000033B8: D1ED0040 00B6552B
	v_cvt_f32_i32_e32 v44, v44                                 // 0000000033C0: 7E580B2C
	v_cvt_f32_i32_e32 v45, v45                                 // 0000000033C4: 7E5A0B2D
	v_pk_mul_f32 v[44:45], v[44:45], v[86:87]                  // 0000000033C8: D3B1402C 1802AD2C
	v_fma_f32 v44, v44, v74, v100                              // 0000000033D0: D1CB002C 0592952C
	v_fma_f32 v45, v45, v74, v101                              // 0000000033D8: D1CB002D 0596952D
	v_perm_b32 v65, v45, v44, s45                              // 0000000033E0: D1ED0041 00B6592D
	v_cvt_f32_i32_e32 v46, v46                                 // 0000000033E8: 7E5C0B2E
	v_cvt_f32_i32_e32 v47, v47                                 // 0000000033EC: 7E5E0B2F
	v_pk_mul_f32 v[46:47], v[46:47], v[80:81]                  // 0000000033F0: D3B1402E 1802A12E
	v_fma_f32 v46, v46, v75, v94                               // 0000000033F8: D1CB002E 057A972E
	v_fma_f32 v47, v47, v75, v95                               // 000000003400: D1CB002F 057E972F
	v_perm_b32 v66, v47, v46, s45                              // 000000003408: D1ED0042 00B65D2F
	v_cvt_f32_i32_e32 v48, v48                                 // 000000003410: 7E600B30
	v_cvt_f32_i32_e32 v49, v49                                 // 000000003414: 7E620B31
	v_pk_mul_f32 v[48:49], v[48:49], v[82:83]                  // 000000003418: D3B14030 1802A530
	v_fma_f32 v48, v48, v75, v96                               // 000000003420: D1CB0030 05829730
	v_fma_f32 v49, v49, v75, v97                               // 000000003428: D1CB0031 05869731
	v_perm_b32 v67, v49, v48, s45                              // 000000003430: D1ED0043 00B66131
	v_cvt_f32_i32_e32 v50, v50                                 // 000000003438: 7E640B32
	v_cvt_f32_i32_e32 v51, v51                                 // 00000000343C: 7E660B33
	v_pk_mul_f32 v[50:51], v[50:51], v[84:85]                  // 000000003440: D3B14032 1802A932
	v_fma_f32 v50, v50, v75, v98                               // 000000003448: D1CB0032 058A9732
	v_fma_f32 v51, v51, v75, v99                               // 000000003450: D1CB0033 058E9733
	v_perm_b32 v68, v51, v50, s45                              // 000000003458: D1ED0044 00B66533
	v_cvt_f32_i32_e32 v52, v52                                 // 000000003460: 7E680B34
	v_cvt_f32_i32_e32 v53, v53                                 // 000000003464: 7E6A0B35
	v_pk_mul_f32 v[52:53], v[52:53], v[86:87]                  // 000000003468: D3B14034 1802AD34
	v_fma_f32 v52, v52, v75, v100                              // 000000003470: D1CB0034 05929734
	v_fma_f32 v53, v53, v75, v101                              // 000000003478: D1CB0035 05969735
	v_perm_b32 v69, v53, v52, s45                              // 000000003480: D1ED0045 00B66935
	v_cvt_f32_i32_e32 v54, v54                                 // 000000003488: 7E6C0B36
	v_cvt_f32_i32_e32 v55, v55                                 // 00000000348C: 7E6E0B37
	v_pk_mul_f32 v[54:55], v[54:55], v[80:81]                  // 000000003490: D3B14036 1802A136
	v_fma_f32 v54, v54, v76, v94                               // 000000003498: D1CB0036 057A9936
	v_fma_f32 v55, v55, v76, v95                               // 0000000034A0: D1CB0037 057E9937
	v_perm_b32 v70, v55, v54, s45                              // 0000000034A8: D1ED0046 00B66D37
	v_cvt_f32_i32_e32 v56, v56                                 // 0000000034B0: 7E700B38
	v_cvt_f32_i32_e32 v57, v57                                 // 0000000034B4: 7E720B39
	v_pk_mul_f32 v[56:57], v[56:57], v[82:83]                  // 0000000034B8: D3B14038 1802A538
	v_fma_f32 v56, v56, v76, v96                               // 0000000034C0: D1CB0038 05829938
	v_fma_f32 v57, v57, v76, v97                               // 0000000034C8: D1CB0039 05869939
	v_perm_b32 v71, v57, v56, s45                              // 0000000034D0: D1ED0047 00B67139
	v_cvt_f32_i32_e32 v58, v58                                 // 0000000034D8: 7E740B3A
	v_cvt_f32_i32_e32 v59, v59                                 // 0000000034DC: 7E760B3B
	v_pk_mul_f32 v[58:59], v[58:59], v[84:85]                  // 0000000034E0: D3B1403A 1802A93A
	v_fma_f32 v58, v58, v76, v98                               // 0000000034E8: D1CB003A 058A993A
	v_fma_f32 v59, v59, v76, v99                               // 0000000034F0: D1CB003B 058E993B
	v_perm_b32 v72, v59, v58, s45                              // 0000000034F8: D1ED0048 00B6753B
	v_cvt_f32_i32_e32 v60, v60                                 // 000000003500: 7E780B3C
	v_cvt_f32_i32_e32 v61, v61                                 // 000000003504: 7E7A0B3D
	v_pk_mul_f32 v[60:61], v[60:61], v[86:87]                  // 000000003508: D3B1403C 1802AD3C
	v_fma_f32 v60, v60, v76, v100                              // 000000003510: D1CB003C 0592993C
	v_fma_f32 v61, v61, v76, v101                              // 000000003518: D1CB003D 0596993D
	v_perm_b32 v73, v61, v60, s45                              // 000000003520: D1ED0049 00B6793D
	v_lshrrev_b32_e32 v4, 4, v0                                // 000000003528: 20080084
	v_mul_u32_u24_e32 v30, 34, v4                              // 00000000352C: 103C08A2
	v_and_b32_e32 v4, 15, v0                                   // 000000003530: 2608008F
	v_mul_lo_u32 v5, 2, v4                                     // 000000003534: D2850005 00020882
	v_add_u32_e32 v30, v5, v30                                 // 00000000353C: 683C3D05
	s_mul_i32 s47, s44, 0x110                                  // 000000003540: 922FFF2C 00000110
	v_add_u32_e32 v30, s47, v30                                // 000000003548: 683C3C2F
	v_lshlrev_b32_e32 v30, 2, v30                              // 00000000354C: 243C3C82
	v_lshrrev_b32_e32 v4, 1, v0                                // 000000003550: 20080081
	v_mul_u32_u24_e32 v36, 34, v4                              // 000000003554: 104808A2
	v_and_b32_e32 v5, 1, v0                                    // 000000003558: 260A0081
	v_add_u32_e32 v36, v5, v36                                 // 00000000355C: 68484905
	s_mul_i32 s47, s44, 2                                      // 000000003560: 922F822C
	v_add_u32_e32 v36, s47, v36                                // 000000003564: 6848482F
	v_lshlrev_b32_e32 v36, 2, v36                              // 000000003568: 24484882
	s_waitcnt vmcnt(0) expcnt(0) lgkmcnt(0)                    // 00000000356C: BF8C0000
	s_barrier                                                  // 000000003570: BF8A0000
	ds_write_b64 v30, v[62:63]                                 // 000000003574: D89A0000 00003E1E
	ds_write_b64 v30, v[64:65] offset:544                      // 00000000357C: D89A0220 0000401E
	ds_write_b64 v30, v[66:67] offset:4352                     // 000000003584: D89A1100 0000421E
	ds_write_b64 v30, v[68:69] offset:4896                     // 00000000358C: D89A1320 0000441E
	ds_write_b64 v30, v[70:71] offset:8704                     // 000000003594: D89A2200 0000461E
	ds_write_b64 v30, v[72:73] offset:9248                     // 00000000359C: D89A2420 0000481E
	s_waitcnt lgkmcnt(0)                                       // 0000000035A4: BF8CC07F
	s_barrier                                                  // 0000000035A8: BF8A0000
	ds_read_b32 v62, v36                                       // 0000000035AC: D86C0000 3E000024
	ds_read_b32 v63, v36 offset:32                             // 0000000035B4: D86C0020 3F000024
	ds_read_b32 v64, v36 offset:64                             // 0000000035BC: D86C0040 40000024
	ds_read_b32 v65, v36 offset:96                             // 0000000035C4: D86C0060 41000024
	ds_read_b32 v66, v36 offset:4352                           // 0000000035CC: D86C1100 42000024
	ds_read_b32 v67, v36 offset:4384                           // 0000000035D4: D86C1120 43000024
	ds_read_b32 v68, v36 offset:4416                           // 0000000035DC: D86C1140 44000024
	ds_read_b32 v69, v36 offset:4448                           // 0000000035E4: D86C1160 45000024
	ds_read_b32 v70, v36 offset:8704                           // 0000000035EC: D86C2200 46000024
	ds_read_b32 v71, v36 offset:8736                           // 0000000035F4: D86C2220 47000024
	ds_read_b32 v72, v36 offset:8768                           // 0000000035FC: D86C2240 48000024
	ds_read_b32 v73, v36 offset:8800                           // 000000003604: D86C2260 49000024
	s_waitcnt lgkmcnt(0)                                       // 00000000360C: BF8CC07F
	s_barrier                                                  // 000000003610: BF8A0000
	s_mul_i32 s47, s37, 4                                      // 000000003614: 922F8425
	s_mul_i32 s48, s37, 8                                      // 000000003618: 92308825
	s_mul_i32 s49, s37, 16                                     // 00000000361C: 92319025
	v_mov_b32_e32 v4, v19                                      // 000000003620: 7E080313
	v_mov_b32_e32 v5, 0                                        // 000000003624: 7E0A0280
	v_mov_b32_e32 v7, 0                                        // 000000003628: 7E0E0280
	v_mov_b32_e32 v9, 0                                        // 00000000362C: 7E120280
	v_mov_b32_e32 v11, 0                                       // 000000003630: 7E160280
	v_mov_b32_e32 v6, v4                                       // 000000003634: 7E0C0304
	v_add_u32_e64 v10, v4, s48                                 // 000000003638: D134000A 00006104
	s_cmp_ge_u32 s77, s32                                      // 000000003640: BF09204D
	s_cbranch_scc1 label_0669                                  // 000000003644: BF8500D7
	global_atomic_pk_add_bf16 v6, v62, s[80:81]                // 000000003648: DD488000 00503E06
	v_add_u32_e64 v8, v6, s47                                  // 000000003650: D1340008 00005F06
	s_add_i32 s77, s77, 4                                      // 000000003658: 814D844D
	s_cmp_ge_u32 s77, s32                                      // 00000000365C: BF09204D
	s_cbranch_scc1 label_0669                                  // 000000003660: BF8500D0
	global_atomic_pk_add_bf16 v8, v63, s[80:81]                // 000000003664: DD488000 00503F08
	s_add_i32 s77, s77, 4                                      // 00000000366C: 814D844D
	s_cmp_ge_u32 s77, s32                                      // 000000003670: BF09204D
	s_cbranch_scc1 label_0669                                  // 000000003674: BF8500CB
	global_atomic_pk_add_bf16 v10, v64, s[80:81]               // 000000003678: DD488000 0050400A
	v_add_u32_e64 v12, v10, s47                                // 000000003680: D134000C 00005F0A
	s_add_i32 s77, s77, 4                                      // 000000003688: 814D844D
	s_cmp_ge_u32 s77, s32                                      // 00000000368C: BF09204D
	s_cbranch_scc1 label_0669                                  // 000000003690: BF8500C4
	global_atomic_pk_add_bf16 v12, v65, s[80:81]               // 000000003694: DD488000 0050410C
	s_add_i32 s77, s77, 4                                      // 00000000369C: 814D844D
	v_add_u32_e64 v4, v4, s49                                  // 0000000036A0: D1340004 00006304
	v_mov_b32_e32 v6, v4                                       // 0000000036A8: 7E0C0304
	v_add_u32_e64 v10, v4, s48                                 // 0000000036AC: D134000A 00006104
	s_cmp_ge_u32 s77, s32                                      // 0000000036B4: BF09204D
	s_cbranch_scc1 label_0669                                  // 0000000036B8: BF8500BA
	global_atomic_pk_add_bf16 v6, v66, s[80:81]                // 0000000036BC: DD488000 00504206
	v_add_u32_e64 v8, v6, s47                                  // 0000000036C4: D1340008 00005F06
	s_add_i32 s77, s77, 4                                      // 0000000036CC: 814D844D
	s_cmp_ge_u32 s77, s32                                      // 0000000036D0: BF09204D
	s_cbranch_scc1 label_0669                                  // 0000000036D4: BF8500B3
	global_atomic_pk_add_bf16 v8, v67, s[80:81]                // 0000000036D8: DD488000 00504308
	s_add_i32 s77, s77, 4                                      // 0000000036E0: 814D844D
	s_cmp_ge_u32 s77, s32                                      // 0000000036E4: BF09204D
	s_cbranch_scc1 label_0669                                  // 0000000036E8: BF8500AE
	global_atomic_pk_add_bf16 v10, v68, s[80:81]               // 0000000036EC: DD488000 0050440A
	v_add_u32_e64 v12, v10, s47                                // 0000000036F4: D134000C 00005F0A
	s_add_i32 s77, s77, 4                                      // 0000000036FC: 814D844D
	s_cmp_ge_u32 s77, s32                                      // 000000003700: BF09204D
	s_cbranch_scc1 label_0669                                  // 000000003704: BF8500A7
	global_atomic_pk_add_bf16 v12, v69, s[80:81]               // 000000003708: DD488000 0050450C
	s_add_i32 s77, s77, 4                                      // 000000003710: 814D844D
	v_add_u32_e64 v4, v4, s49                                  // 000000003714: D1340004 00006304
	v_mov_b32_e32 v6, v4                                       // 00000000371C: 7E0C0304
	v_add_u32_e64 v10, v4, s48                                 // 000000003720: D134000A 00006104
	s_cmp_ge_u32 s77, s32                                      // 000000003728: BF09204D
	s_cbranch_scc1 label_0669                                  // 00000000372C: BF85009D
	global_atomic_pk_add_bf16 v6, v70, s[80:81]                // 000000003730: DD488000 00504606
	v_add_u32_e64 v8, v6, s47                                  // 000000003738: D1340008 00005F06
	s_add_i32 s77, s77, 4                                      // 000000003740: 814D844D
	s_cmp_ge_u32 s77, s32                                      // 000000003744: BF09204D
	s_cbranch_scc1 label_0669                                  // 000000003748: BF850096
	global_atomic_pk_add_bf16 v8, v71, s[80:81]                // 00000000374C: DD488000 00504708
	s_add_i32 s77, s77, 4                                      // 000000003754: 814D844D
	s_cmp_ge_u32 s77, s32                                      // 000000003758: BF09204D
	s_cbranch_scc1 label_0669                                  // 00000000375C: BF850091
	global_atomic_pk_add_bf16 v10, v72, s[80:81]               // 000000003760: DD488000 0050480A
	v_add_u32_e64 v12, v10, s47                                // 000000003768: D134000C 00005F0A
	s_add_i32 s77, s77, 4                                      // 000000003770: 814D844D
	s_cmp_ge_u32 s77, s32                                      // 000000003774: BF09204D
	s_cbranch_scc1 label_0669                                  // 000000003778: BF85008A
	global_atomic_pk_add_bf16 v12, v73, s[80:81]               // 00000000377C: DD488000 0050490C
	s_add_i32 s77, s77, 4                                      // 000000003784: 814D844D
	v_add_u32_e64 v4, v4, s49                                  // 000000003788: D1340004 00006304
	s_branch label_0669                                        // 000000003790: BF820084

0000000000003794 <label_05E5>:
	v_cvt_f32_i32_e32 v38, v38                                 // 000000003794: 7E4C0B26
	v_cvt_f32_i32_e32 v39, v39                                 // 000000003798: 7E4E0B27
	v_pk_mul_f32 v[38:39], v[38:39], v[80:81]                  // 00000000379C: D3B14026 1802A126
	v_fma_f32 v38, v38, v74, v94                               // 0000000037A4: D1CB0026 057A9526
	v_fma_f32 v39, v39, v74, v95                               // 0000000037AC: D1CB0027 057E9527
	v_perm_b32 v62, v39, v38, s45                              // 0000000037B4: D1ED003E 00B64D27
	v_cvt_f32_i32_e32 v40, v40                                 // 0000000037BC: 7E500B28
	v_cvt_f32_i32_e32 v41, v41                                 // 0000000037C0: 7E520B29
	v_pk_mul_f32 v[40:41], v[40:41], v[82:83]                  // 0000000037C4: D3B14028 1802A528
	v_fma_f32 v40, v40, v74, v96                               // 0000000037CC: D1CB0028 05829528
	v_fma_f32 v41, v41, v74, v97                               // 0000000037D4: D1CB0029 05869529
	v_perm_b32 v63, v41, v40, s45                              // 0000000037DC: D1ED003F 00B65129
	buffer_store_dwordx2 v[62:63], v16, s[16:19], 0 offen      // 0000000037E4: E0741000 80043E10
	v_cvt_f32_i32_e32 v42, v42                                 // 0000000037EC: 7E540B2A
	v_cvt_f32_i32_e32 v43, v43                                 // 0000000037F0: 7E560B2B
	v_pk_mul_f32 v[42:43], v[42:43], v[84:85]                  // 0000000037F4: D3B1402A 1802A92A
	v_fma_f32 v42, v42, v74, v98                               // 0000000037FC: D1CB002A 058A952A
	v_fma_f32 v43, v43, v74, v99                               // 000000003804: D1CB002B 058E952B
	v_perm_b32 v64, v43, v42, s45                              // 00000000380C: D1ED0040 00B6552B
	v_cvt_f32_i32_e32 v44, v44                                 // 000000003814: 7E580B2C
	v_cvt_f32_i32_e32 v45, v45                                 // 000000003818: 7E5A0B2D
	v_pk_mul_f32 v[44:45], v[44:45], v[86:87]                  // 00000000381C: D3B1402C 1802AD2C
	v_fma_f32 v44, v44, v74, v100                              // 000000003824: D1CB002C 0592952C
	v_fma_f32 v45, v45, v74, v101                              // 00000000382C: D1CB002D 0596952D
	v_perm_b32 v65, v45, v44, s45                              // 000000003834: D1ED0041 00B6592D
	buffer_store_dwordx2 v[64:65], v16, s[16:19], 0 offen offset:32// 00000000383C: E0741020 80044010
	v_cvt_f32_i32_e32 v46, v46                                 // 000000003844: 7E5C0B2E
	v_cvt_f32_i32_e32 v47, v47                                 // 000000003848: 7E5E0B2F
	v_pk_mul_f32 v[46:47], v[46:47], v[80:81]                  // 00000000384C: D3B1402E 1802A12E
	v_fma_f32 v46, v46, v75, v94                               // 000000003854: D1CB002E 057A972E
	v_fma_f32 v47, v47, v75, v95                               // 00000000385C: D1CB002F 057E972F
	v_perm_b32 v66, v47, v46, s45                              // 000000003864: D1ED0042 00B65D2F
	v_cvt_f32_i32_e32 v48, v48                                 // 00000000386C: 7E600B30
	v_cvt_f32_i32_e32 v49, v49                                 // 000000003870: 7E620B31
	v_pk_mul_f32 v[48:49], v[48:49], v[82:83]                  // 000000003874: D3B14030 1802A530
	v_fma_f32 v48, v48, v75, v96                               // 00000000387C: D1CB0030 05829730
	v_fma_f32 v49, v49, v75, v97                               // 000000003884: D1CB0031 05869731
	v_perm_b32 v67, v49, v48, s45                              // 00000000388C: D1ED0043 00B66131
	buffer_store_dwordx2 v[66:67], v17, s[16:19], 0 offen      // 000000003894: E0741000 80044211
	v_cvt_f32_i32_e32 v50, v50                                 // 00000000389C: 7E640B32
	v_cvt_f32_i32_e32 v51, v51                                 // 0000000038A0: 7E660B33
	v_pk_mul_f32 v[50:51], v[50:51], v[84:85]                  // 0000000038A4: D3B14032 1802A932
	v_fma_f32 v50, v50, v75, v98                               // 0000000038AC: D1CB0032 058A9732
	v_fma_f32 v51, v51, v75, v99                               // 0000000038B4: D1CB0033 058E9733
	v_perm_b32 v68, v51, v50, s45                              // 0000000038BC: D1ED0044 00B66533
	v_cvt_f32_i32_e32 v52, v52                                 // 0000000038C4: 7E680B34
	v_cvt_f32_i32_e32 v53, v53                                 // 0000000038C8: 7E6A0B35
	v_pk_mul_f32 v[52:53], v[52:53], v[86:87]                  // 0000000038CC: D3B14034 1802AD34
	v_fma_f32 v52, v52, v75, v100                              // 0000000038D4: D1CB0034 05929734
	v_fma_f32 v53, v53, v75, v101                              // 0000000038DC: D1CB0035 05969735
	v_perm_b32 v69, v53, v52, s45                              // 0000000038E4: D1ED0045 00B66935
	buffer_store_dwordx2 v[68:69], v17, s[16:19], 0 offen offset:32// 0000000038EC: E0741020 80044411
	v_cvt_f32_i32_e32 v54, v54                                 // 0000000038F4: 7E6C0B36
	v_cvt_f32_i32_e32 v55, v55                                 // 0000000038F8: 7E6E0B37
	v_pk_mul_f32 v[54:55], v[54:55], v[80:81]                  // 0000000038FC: D3B14036 1802A136
	v_fma_f32 v54, v54, v76, v94                               // 000000003904: D1CB0036 057A9936
	v_fma_f32 v55, v55, v76, v95                               // 00000000390C: D1CB0037 057E9937
	v_perm_b32 v70, v55, v54, s45                              // 000000003914: D1ED0046 00B66D37
	v_cvt_f32_i32_e32 v56, v56                                 // 00000000391C: 7E700B38
	v_cvt_f32_i32_e32 v57, v57                                 // 000000003920: 7E720B39
	v_pk_mul_f32 v[56:57], v[56:57], v[82:83]                  // 000000003924: D3B14038 1802A538
	v_fma_f32 v56, v56, v76, v96                               // 00000000392C: D1CB0038 05829938
	v_fma_f32 v57, v57, v76, v97                               // 000000003934: D1CB0039 05869939
	v_perm_b32 v71, v57, v56, s45                              // 00000000393C: D1ED0047 00B67139
	buffer_store_dwordx2 v[70:71], v18, s[16:19], 0 offen      // 000000003944: E0741000 80044612
	v_cvt_f32_i32_e32 v58, v58                                 // 00000000394C: 7E740B3A
	v_cvt_f32_i32_e32 v59, v59                                 // 000000003950: 7E760B3B
	v_pk_mul_f32 v[58:59], v[58:59], v[84:85]                  // 000000003954: D3B1403A 1802A93A
	v_fma_f32 v58, v58, v76, v98                               // 00000000395C: D1CB003A 058A993A
	v_fma_f32 v59, v59, v76, v99                               // 000000003964: D1CB003B 058E993B
	v_perm_b32 v72, v59, v58, s45                              // 00000000396C: D1ED0048 00B6753B
	v_cvt_f32_i32_e32 v60, v60                                 // 000000003974: 7E780B3C
	v_cvt_f32_i32_e32 v61, v61                                 // 000000003978: 7E7A0B3D
	v_pk_mul_f32 v[60:61], v[60:61], v[86:87]                  // 00000000397C: D3B1403C 1802AD3C
	v_fma_f32 v60, v60, v76, v100                              // 000000003984: D1CB003C 0592993C
	v_fma_f32 v61, v61, v76, v101                              // 00000000398C: D1CB003D 0596993D
	v_perm_b32 v73, v61, v60, s45                              // 000000003994: D1ED0049 00B6793D
	buffer_store_dwordx2 v[72:73], v18, s[16:19], 0 offen offset:32// 00000000399C: E0741020 80044812

00000000000039a4 <label_0669>:
	s_waitcnt vmcnt(0) expcnt(0) lgkmcnt(0)                    // 0000000039A4: BF8C0000
	s_endpgm                                                   // 0000000039A8: BF810000
